;; amdgpu-corpus repo=ROCm/aiter kind=harvested arch=n/a opt=n/a

/root/src/amdgpu-assembly/repos/ROCm__aiter/hsa/gfx950/fmoe/gelu/fmoe_bf16_blockscaleFp8_g1u1_vs_gelu_1tg_ps_64x128.co:	file format elf64-amdgpu

Disassembly of section .text:

0000000000002e00 <_ZN5aiter40fmoe_bf16_blockscaleFp8_g1u1_gelu_64x128E>:
	v_lshrrev_b32_e32 v1, 10, v0                               // 000000002E00: 2002008A
	v_lshrrev_b32_e32 v2, 10, v1                               // 000000002E04: 2004028A
	v_and_b32_e32 v2, 0x3ff, v2                                // 000000002E08: 260404FF 000003FF
	v_and_b32_e32 v1, 0x3ff, v1                                // 000000002E10: 260202FF 000003FF
	v_and_b32_e32 v0, 0x3ff, v0                                // 000000002E18: 260000FF 000003FF
	v_lshrrev_b32_e32 v3, 6, v0                                // 000000002E20: 20060086
	v_and_b32_e32 v0, 63, v0                                   // 000000002E24: 260000BF
	s_mov_b32 s2, s2                                           // 000000002E28: BE820002
	s_mov_b32 s3, s3                                           // 000000002E2C: BE830003
	s_mov_b32 s4, s4                                           // 000000002E30: BE840004
	s_mov_b32 s100, s2                                         // 000000002E34: BEE40002
	v_readfirstlane_b32 s7, v3                                 // 000000002E38: 7E0E0503
	s_and_b32 s1, s1, 0xffff                                   // 000000002E3C: 8601FF01 0000FFFF
	s_mov_b32 s20, 0                                           // 000000002E44: BE940080
	s_mov_b32 s59, 0                                           // 000000002E48: BEBB0080
	s_mov_b32 s101, 0                                          // 000000002E4C: BEE50080
	s_load_dword s20, s[0:1], 0x1a0                            // 000000002E50: C0020500 000001A0
	s_load_dword s59, s[0:1], 0x1b0                            // 000000002E58: C0020EC0 000001B0
	s_waitcnt lgkmcnt(0)                                       // 000000002E60: BF8CC07F
	s_cmp_eq_u32 s20, 0                                        // 000000002E64: BF068014
	s_cbranch_scc1 label_0062                                  // 000000002E68: BF850047
	v_cvt_f32_u32_e32 v58, s59                                 // 000000002E6C: 7E740C3B
	s_sub_i32 s56, 0, s59                                      // 000000002E70: 81B83B80
	v_rcp_iflag_f32_e32 v58, v58                               // 000000002E74: 7E74473A
	s_nop 0                                                    // 000000002E78: BF800000
	v_mul_f32_e32 v58, 0x4f7ffffe, v58                         // 000000002E7C: 0A7474FF 4F7FFFFE
	v_cvt_u32_f32_e32 v58, v58                                 // 000000002E84: 7E740F3A
	v_mul_lo_u32 v59, s56, v58                                 // 000000002E88: D285003B 00027438
	v_mul_hi_u32 v59, v58, v59                                 // 000000002E90: D286003B 0002773A
	v_add_u32_e32 v58, v58, v59                                // 000000002E98: 6874773A
	v_mul_hi_u32 v58, s20, v58                                 // 000000002E9C: D286003A 00027414
	v_mul_lo_u32 v59, v58, s59                                 // 000000002EA4: D285003B 0000773A
	v_sub_u32_e32 v61, s20, v59                                // 000000002EAC: 6A7A7614
	v_add_u32_e32 v60, 1, v58                                  // 000000002EB0: 68787481
	v_cmp_le_u32_e32 vcc, s59, v61                             // 000000002EB4: 7D967A3B
	v_subrev_u32_e32 v59, s59, v61                             // 000000002EB8: 6C767A3B
	s_nop 0                                                    // 000000002EBC: BF800000
	v_cndmask_b32_e32 v58, v58, v60, vcc                       // 000000002EC0: 0074793A
	v_cndmask_b32_e32 v61, v61, v59, vcc                       // 000000002EC4: 007A773D
	v_add_u32_e32 v59, 1, v58                                  // 000000002EC8: 68767481
	v_cmp_le_u32_e32 vcc, s59, v61                             // 000000002ECC: 7D967A3B
	s_nop 1                                                    // 000000002ED0: BF800001
	v_cndmask_b32_e32 v61, v58, v59, vcc                       // 000000002ED4: 007A773A
	s_nop 3                                                    // 000000002ED8: BF800003
	v_readfirstlane_b32 s73, v61                               // 000000002EDC: 7E92053D
	s_nop 3                                                    // 000000002EE0: BF800003

0000000000002ee4 <label_0039>:
	s_mov_b32 s4, 1                                            // 000000002EE4: BE840081
	s_and_b32 s57, s100, 7                                     // 000000002EE8: 86398764
	s_lshr_b32 s58, s100, 3                                    // 000000002EEC: 8F3A8364
	s_mul_i32 s56, s73, s59                                    // 000000002EF0: 92383B49
	s_lshr_b32 s56, s56, 3                                     // 000000002EF4: 8F388338
	s_mul_i32 s57, s57, s56                                    // 000000002EF8: 92393839
	s_add_u32 s58, s57, s58                                    // 000000002EFC: 803A3A39
	v_cvt_f32_u32_e32 v58, s59                                 // 000000002F00: 7E740C3B
	s_sub_i32 s56, 0, s59                                      // 000000002F04: 81B83B80
	v_rcp_iflag_f32_e32 v58, v58                               // 000000002F08: 7E74473A
	s_nop 0                                                    // 000000002F0C: BF800000
	v_mul_f32_e32 v58, 0x4f7ffffe, v58                         // 000000002F10: 0A7474FF 4F7FFFFE
	v_cvt_u32_f32_e32 v58, v58                                 // 000000002F18: 7E740F3A
	v_mul_lo_u32 v59, s56, v58                                 // 000000002F1C: D285003B 00027438
	v_mul_hi_u32 v59, v58, v59                                 // 000000002F24: D286003B 0002773A
	v_add_u32_e32 v58, v58, v59                                // 000000002F2C: 6874773A
	v_mul_hi_u32 v58, s58, v58                                 // 000000002F30: D286003A 0002743A
	v_mul_lo_u32 v59, v58, s59                                 // 000000002F38: D285003B 0000773A
	v_sub_u32_e32 v61, s58, v59                                // 000000002F40: 6A7A763A
	v_add_u32_e32 v60, 1, v58                                  // 000000002F44: 68787481
	v_cmp_le_u32_e32 vcc, s59, v61                             // 000000002F48: 7D967A3B
	v_subrev_u32_e32 v59, s59, v61                             // 000000002F4C: 6C767A3B
	s_nop 0                                                    // 000000002F50: BF800000
	v_cndmask_b32_e32 v58, v58, v60, vcc                       // 000000002F54: 0074793A
	v_cndmask_b32_e32 v61, v61, v59, vcc                       // 000000002F58: 007A773D
	v_add_u32_e32 v59, 1, v58                                  // 000000002F5C: 68767481
	v_cmp_le_u32_e32 vcc, s59, v61                             // 000000002F60: 7D967A3B
	s_nop 1                                                    // 000000002F64: BF800001
	v_cndmask_b32_e32 v61, v58, v59, vcc                       // 000000002F68: 007A773A
	s_nop 3                                                    // 000000002F6C: BF800003
	v_readfirstlane_b32 s3, v61                                // 000000002F70: 7E06053D
	s_nop 3                                                    // 000000002F74: BF800003
	s_mul_i32 s56, s3, s59                                     // 000000002F78: 92383B03
	s_sub_u32 s2, s58, s56                                     // 000000002F7C: 8082383A
	s_mul_i32 s56, s73, s101                                   // 000000002F80: 92386549
	s_add_i32 s3, s3, s56                                      // 000000002F84: 81033803

0000000000002f88 <label_0062>:
	s_and_b32 s1, s1, 0xffff                                   // 000000002F88: 8601FF01 0000FFFF
	s_load_dwordx2 s[8:9], s[0:1], 0x0                         // 000000002F90: C0060200 00000000
	s_load_dwordx2 s[20:21], s[0:1], 0x10                      // 000000002F98: C0060500 00000010
	s_load_dwordx2 s[24:25], s[0:1], 0x20                      // 000000002FA0: C0060600 00000020
	s_load_dwordx2 s[50:51], s[0:1], 0x30                      // 000000002FA8: C0060C80 00000030
	s_load_dwordx2 s[12:13], s[0:1], 0x40                      // 000000002FB0: C0060300 00000040
	s_load_dwordx2 s[28:29], s[0:1], 0x50                      // 000000002FB8: C0060700 00000050
	s_load_dwordx2 s[32:33], s[0:1], 0x60                      // 000000002FC0: C0060800 00000060
	s_load_dwordx2 s[16:17], s[0:1], 0x70                      // 000000002FC8: C0060400 00000070
	s_load_dwordx2 s[36:37], s[0:1], 0x80                      // 000000002FD0: C0060900 00000080
	s_load_dwordx2 s[44:45], s[0:1], 0x90                      // 000000002FD8: C0060B00 00000090
	s_load_dwordx2 s[40:41], s[0:1], 0xa0                      // 000000002FE0: C0060A00 000000A0
	s_load_dwordx2 s[46:47], s[0:1], 0xb0                      // 000000002FE8: C0060B80 000000B0
	s_load_dword s60, s[0:1], 0xc0                             // 000000002FF0: C0020F00 000000C0
	s_load_dword s61, s[0:1], 0xd0                             // 000000002FF8: C0020F40 000000D0
	s_load_dword s63, s[0:1], 0xf0                             // 000000003000: C0020FC0 000000F0
	s_load_dword s64, s[0:1], 0x100                            // 000000003008: C0021000 00000100
	s_load_dword s65, s[0:1], 0x110                            // 000000003010: C0021040 00000110
	s_load_dword s66, s[0:1], 0x120                            // 000000003018: C0021080 00000120
	s_load_dword s67, s[0:1], 0x130                            // 000000003020: C00210C0 00000130
	s_load_dword s68, s[0:1], 0x140                            // 000000003028: C0021100 00000140
	s_load_dword s69, s[0:1], 0x150                            // 000000003030: C0021140 00000150
	s_load_dword s70, s[0:1], 0x160                            // 000000003038: C0021180 00000160
	s_load_dword s71, s[0:1], 0x170                            // 000000003040: C00211C0 00000170
	s_load_dword s72, s[0:1], 0x180                            // 000000003048: C0021200 00000180
	s_mov_b32 s2, s2                                           // 000000003050: BE820002
	s_mov_b32 s3, s3                                           // 000000003054: BE830003
	s_mov_b32 s4, s4                                           // 000000003058: BE840004
	s_waitcnt lgkmcnt(0)                                       // 00000000305C: BF8CC07F
	s_and_b32 s51, s51, 0xffff                                 // 000000003060: 8633FF33 0000FFFF
	s_load_dword s62, s[50:51], 0x4                            // 000000003068: C0020F99 00000004
	s_load_dword s50, s[50:51], 0x0                            // 000000003070: C0020C99 00000000
	s_waitcnt lgkmcnt(0)                                       // 000000003078: BF8CC07F
	s_and_b32 s45, s45, 0xffff                                 // 00000000307C: 862DFF2D 0000FFFF
	s_and_b32 s47, s47, 0xffff                                 // 000000003084: 862FFF2F 0000FFFF
	s_and_b32 s9, s9, 0xffff                                   // 00000000308C: 8609FF09 0000FFFF
	s_mul_i32 s56, s62, s64                                    // 000000003094: 9238403E
	s_mul_i32 s57, s62, 4                                      // 000000003098: 9239843E
	s_mov_b32 s22, s56                                         // 00000000309C: BE960038
	s_mov_b32 s26, -16                                         // 0000000030A0: BE9A00D0
	s_mov_b32 s14, -16                                         // 0000000030A4: BE8E00D0
	s_mov_b32 s42, -16                                         // 0000000030A8: BEAA00D0
	s_mov_b32 s30, -16                                         // 0000000030AC: BE9E00D0
	s_mov_b32 s34, -16                                         // 0000000030B0: BEA200D0
	s_mov_b32 s38, -16                                         // 0000000030B4: BEA600D0
	s_mov_b32 s18, -16                                         // 0000000030B8: BE9200D0
	s_mul_i32 s56, s62, s67                                    // 0000000030BC: 9238433E
	s_mov_b32 s10, s56                                         // 0000000030C0: BE8A0038
	s_mov_b32 s23, 0x20000                                     // 0000000030C4: BE9700FF 00020000
	s_mov_b32 s27, 0x20000                                     // 0000000030CC: BE9B00FF 00020000
	s_mov_b32 s15, 0x20000                                     // 0000000030D4: BE8F00FF 00020000
	s_mov_b32 s43, 0x20000                                     // 0000000030DC: BEAB00FF 00020000
	s_mov_b32 s31, 0x20000                                     // 0000000030E4: BE9F00FF 00020000
	s_mov_b32 s35, 0x20000                                     // 0000000030EC: BEA300FF 00020000
	s_mov_b32 s39, 0x20000                                     // 0000000030F4: BEA700FF 00020000
	s_mov_b32 s19, 0x20000                                     // 0000000030FC: BE9300FF 00020000
	s_mov_b32 s11, 0x20000                                     // 000000003104: BE8B00FF 00020000
	s_and_b32 s21, s21, 0xffff                                 // 00000000310C: 8615FF15 0000FFFF
	s_and_b32 s25, s25, 0xffff                                 // 000000003114: 8619FF19 0000FFFF
	s_and_b32 s13, s13, 0xffff                                 // 00000000311C: 860DFF0D 0000FFFF
	s_and_b32 s41, s41, 0xffff                                 // 000000003124: 8629FF29 0000FFFF
	s_and_b32 s29, s29, 0xffff                                 // 00000000312C: 861DFF1D 0000FFFF
	s_and_b32 s33, s33, 0xffff                                 // 000000003134: 8621FF21 0000FFFF
	s_and_b32 s37, s37, 0xffff                                 // 00000000313C: 8625FF25 0000FFFF
	s_and_b32 s17, s17, 0xffff                                 // 000000003144: 8611FF11 0000FFFF
	s_or_b32 s21, s21, 0x40000                                 // 00000000314C: 8715FF15 00040000
	s_or_b32 s25, s25, 0x40000                                 // 000000003154: 8719FF19 00040000
	s_or_b32 s13, s13, 0x40000                                 // 00000000315C: 870DFF0D 00040000
	s_or_b32 s41, s41, 0x40000                                 // 000000003164: 8729FF29 00040000
	s_or_b32 s29, s29, 0x40000                                 // 00000000316C: 871DFF1D 00040000
	s_or_b32 s33, s33, 0x40000                                 // 000000003174: 8721FF21 00040000
	s_or_b32 s37, s37, 0x40000                                 // 00000000317C: 8725FF25 00040000
	s_or_b32 s17, s17, 0x40000                                 // 000000003184: 8711FF11 00040000
	v_accvgpr_write_b32 a191, 0                                // 00000000318C: D3D940BF 18000080
	v_mov_b32_e32 v255, 0                                      // 000000003194: 7FFE0280
	s_waitcnt lgkmcnt(0)                                       // 000000003198: BF8CC07F
	s_mul_i32 s56, s3, 64                                      // 00000000319C: 9238C003
	s_cmp_lt_i32 s56, s50                                      // 0000000031A0: BF043238
	s_cbranch_scc0 label_18B2                                  // 0000000031A4: BF8417C8
	s_mov_b32 s76, 0                                           // 0000000031A8: BECC0080
	s_mov_b32 s77, s60                                         // 0000000031AC: BECD003C
	s_mul_i32 s56, s3, 4                                       // 0000000031B0: 92388403
	s_add_u32 s46, s56, s46                                    // 0000000031B4: 802E2E38
	s_addc_u32 s47, 0, s47                                     // 0000000031B8: 822F2F80
	s_load_dword s5, s[46:47], 0x0                             // 0000000031BC: C0020157 00000000
	s_mul_i32 s56, s3, 64                                      // 0000000031C4: 9238C003
	s_mul_i32 s56, 4, s56                                      // 0000000031C8: 92383884
	v_and_b32_e32 v58, 15, v0                                  // 0000000031CC: 2674008F
	v_lshlrev_b32_e32 v58, 2, v58                              // 0000000031D0: 24747482
	v_add_u32_e32 v58, s56, v58                                // 0000000031D4: 68747438
	v_mov_b32_e32 v59, 0                                       // 0000000031D8: 7E760280
	global_load_dword v9, v58, s[44:45]                        // 0000000031DC: DC508000 092C003A
	v_add_u32_e32 v58, 64, v58                                 // 0000000031E4: 687474C0
	global_load_dword v10, v58, s[44:45]                       // 0000000031E8: DC508000 0A2C003A
	v_add_u32_e32 v58, 64, v58                                 // 0000000031F0: 687474C0
	global_load_dword v11, v58, s[44:45]                       // 0000000031F4: DC508000 0B2C003A
	v_add_u32_e32 v58, 64, v58                                 // 0000000031FC: 687474C0
	global_load_dword v12, v58, s[44:45]                       // 000000003200: DC508000 0C2C003A
	s_mul_i32 s56, s3, 64                                      // 000000003208: 9238C003
	s_lshr_b32 s57, s7, 1                                      // 00000000320C: 8F398107
	s_mul_i32 s57, s57, 8                                      // 000000003210: 92398839
	s_add_u32 s56, s57, s56                                    // 000000003214: 80383839
	s_and_b32 s57, s7, 1                                       // 000000003218: 86398107
	s_mul_i32 s57, s57, 2                                      // 00000000321C: 92398239
	s_add_u32 s56, s57, s56                                    // 000000003220: 80383839
	s_mul_i32 s56, 4, s56                                      // 000000003224: 92383884
	s_add_u32 s44, s56, s44                                    // 000000003228: 802C2C38
	s_addc_u32 s45, 0, s45                                     // 00000000322C: 822D2D80
	s_load_dword s78, s[44:45], 0x0                            // 000000003230: C0021396 00000000
	s_load_dword s79, s[44:45], 0x4                            // 000000003238: C00213D6 00000004
	s_load_dword s80, s[44:45], 0x10                           // 000000003240: C0021416 00000010
	s_load_dword s81, s[44:45], 0x14                           // 000000003248: C0021456 00000014
	s_load_dword s82, s[44:45], 0x40                           // 000000003250: C0021496 00000040
	s_load_dword s83, s[44:45], 0x44                           // 000000003258: C00214D6 00000044
	s_load_dword s84, s[44:45], 0x50                           // 000000003260: C0021516 00000050
	s_load_dword s85, s[44:45], 0x54                           // 000000003268: C0021556 00000054
	s_load_dword s86, s[44:45], 0x80                           // 000000003270: C0021596 00000080
	s_load_dword s87, s[44:45], 0x84                           // 000000003278: C00215D6 00000084
	s_load_dword s88, s[44:45], 0x90                           // 000000003280: C0021616 00000090
	s_load_dword s89, s[44:45], 0x94                           // 000000003288: C0021656 00000094
	s_load_dword s90, s[44:45], 0xc0                           // 000000003290: C0021696 000000C0
	s_load_dword s91, s[44:45], 0xc4                           // 000000003298: C00216D6 000000C4
	s_load_dword s92, s[44:45], 0xd0                           // 0000000032A0: C0021716 000000D0
	s_load_dword s93, s[44:45], 0xd4                           // 0000000032A8: C0021756 000000D4
	s_waitcnt lgkmcnt(0)                                       // 0000000032B0: BF8CC07F
	s_and_b32 s78, s78, 0xffffff                               // 0000000032B4: 864EFF4E 00FFFFFF
	s_mul_i32 s58, s78, s64                                    // 0000000032BC: 923A404E
	s_lshl_b32 s56, 0xff, 0                                    // 0000000032C0: 8E3880FF 000000FF
	s_mov_b32 s57, 0                                           // 0000000032C8: BEB90080
	s_mov_b64 exec, s[56:57]                                   // 0000000032CC: BEFE0138
	v_mov_b32_e32 v43, s58                                     // 0000000032D0: 7E56023A
	s_and_b32 s86, s86, 0xffffff                               // 0000000032D4: 8656FF56 00FFFFFF
	s_mul_i32 s58, s86, s64                                    // 0000000032DC: 923A4056
	v_mov_b32_e32 v45, s58                                     // 0000000032E0: 7E5A023A
	s_and_b32 s79, s79, 0xffffff                               // 0000000032E4: 864FFF4F 00FFFFFF
	s_mul_i32 s58, s79, s64                                    // 0000000032EC: 923A404F
	s_lshl_b32 s56, 0xff, 8                                    // 0000000032F0: 8E3888FF 000000FF
	s_mov_b64 exec, s[56:57]                                   // 0000000032F8: BEFE0138
	v_mov_b32_e32 v43, s58                                     // 0000000032FC: 7E56023A
	s_and_b32 s87, s87, 0xffffff                               // 000000003300: 8657FF57 00FFFFFF
	s_mul_i32 s58, s87, s64                                    // 000000003308: 923A4057
	v_mov_b32_e32 v45, s58                                     // 00000000330C: 7E5A023A
	s_and_b32 s80, s80, 0xffffff                               // 000000003310: 8650FF50 00FFFFFF
	s_mul_i32 s58, s80, s64                                    // 000000003318: 923A4050
	s_lshl_b32 s56, 0xff, 16                                   // 00000000331C: 8E3890FF 000000FF
	s_mov_b64 exec, s[56:57]                                   // 000000003324: BEFE0138
	v_mov_b32_e32 v43, s58                                     // 000000003328: 7E56023A
	s_and_b32 s88, s88, 0xffffff                               // 00000000332C: 8658FF58 00FFFFFF
	s_mul_i32 s58, s88, s64                                    // 000000003334: 923A4058
	v_mov_b32_e32 v45, s58                                     // 000000003338: 7E5A023A
	s_and_b32 s81, s81, 0xffffff                               // 00000000333C: 8651FF51 00FFFFFF
	s_mul_i32 s58, s81, s64                                    // 000000003344: 923A4051
	s_lshl_b32 s56, 0xff, 24                                   // 000000003348: 8E3898FF 000000FF
	s_mov_b64 exec, s[56:57]                                   // 000000003350: BEFE0138
	v_mov_b32_e32 v43, s58                                     // 000000003354: 7E56023A
	s_and_b32 s89, s89, 0xffffff                               // 000000003358: 8659FF59 00FFFFFF
	s_mul_i32 s58, s89, s64                                    // 000000003360: 923A4059
	v_mov_b32_e32 v45, s58                                     // 000000003364: 7E5A023A
	s_and_b32 s82, s82, 0xffffff                               // 000000003368: 8652FF52 00FFFFFF
	s_mul_i32 s58, s82, s64                                    // 000000003370: 923A4052
	s_lshl_b32 s57, 0xff, 0                                    // 000000003374: 8E3980FF 000000FF
	s_mov_b32 s56, 0                                           // 00000000337C: BEB80080
	s_mov_b64 exec, s[56:57]                                   // 000000003380: BEFE0138
	v_mov_b32_e32 v43, s58                                     // 000000003384: 7E56023A
	s_and_b32 s90, s90, 0xffffff                               // 000000003388: 865AFF5A 00FFFFFF
	s_mul_i32 s58, s90, s64                                    // 000000003390: 923A405A
	v_mov_b32_e32 v45, s58                                     // 000000003394: 7E5A023A
	s_and_b32 s83, s83, 0xffffff                               // 000000003398: 8653FF53 00FFFFFF
	s_mul_i32 s58, s83, s64                                    // 0000000033A0: 923A4053
	s_lshl_b32 s57, 0xff, 8                                    // 0000000033A4: 8E3988FF 000000FF
	s_mov_b64 exec, s[56:57]                                   // 0000000033AC: BEFE0138
	v_mov_b32_e32 v43, s58                                     // 0000000033B0: 7E56023A
	s_and_b32 s91, s91, 0xffffff                               // 0000000033B4: 865BFF5B 00FFFFFF
	s_mul_i32 s58, s91, s64                                    // 0000000033BC: 923A405B
	v_mov_b32_e32 v45, s58                                     // 0000000033C0: 7E5A023A
	s_and_b32 s84, s84, 0xffffff                               // 0000000033C4: 8654FF54 00FFFFFF
	s_mul_i32 s58, s84, s64                                    // 0000000033CC: 923A4054
	s_lshl_b32 s57, 0xff, 16                                   // 0000000033D0: 8E3990FF 000000FF
	s_mov_b64 exec, s[56:57]                                   // 0000000033D8: BEFE0138
	v_mov_b32_e32 v43, s58                                     // 0000000033DC: 7E56023A
	s_and_b32 s92, s92, 0xffffff                               // 0000000033E0: 865CFF5C 00FFFFFF
	s_mul_i32 s58, s92, s64                                    // 0000000033E8: 923A405C
	v_mov_b32_e32 v45, s58                                     // 0000000033EC: 7E5A023A
	s_and_b32 s85, s85, 0xffffff                               // 0000000033F0: 8655FF55 00FFFFFF
	s_mul_i32 s58, s85, s64                                    // 0000000033F8: 923A4055
	s_lshl_b32 s57, 0xff, 24                                   // 0000000033FC: 8E3998FF 000000FF
	s_mov_b64 exec, s[56:57]                                   // 000000003404: BEFE0138
	v_mov_b32_e32 v43, s58                                     // 000000003408: 7E56023A
	s_and_b32 s93, s93, 0xffffff                               // 00000000340C: 865DFF5D 00FFFFFF
	s_mul_i32 s58, s93, s64                                    // 000000003414: 923A405D
	v_mov_b32_e32 v45, s58                                     // 000000003418: 7E5A023A
	s_mov_b32 s56, -1                                          // 00000000341C: BEB800C1
	s_mov_b32 s57, -1                                          // 000000003420: BEB900C1
	s_mov_b64 exec, s[56:57]                                   // 000000003424: BEFE0138
	v_and_b32_e64 v58, v0, 7                                   // 000000003428: D113003A 00010F00
	v_lshlrev_b32_e32 v58, 4, v58                              // 000000003430: 24747484
	s_mov_b32 s58, 0x80                                        // 000000003434: BEBA00FF 00000080
	v_add_u32_e32 v43, v43, v58                                // 00000000343C: 6856752B
	v_add_u32_e64 v44, v43, s58                                // 000000003440: D134002C 0000752B
	v_add_u32_e32 v45, v45, v58                                // 000000003448: 685A752D
	v_add_u32_e64 v46, v45, s58                                // 00000000344C: D134002E 0000752D
	v_add_u32_e32 v47, v47, v58                                // 000000003454: 685E752F
	v_add_u32_e64 v48, v47, s58                                // 000000003458: D1340030 0000752F
	v_add_u32_e32 v49, v49, v58                                // 000000003460: 68627531
	v_add_u32_e64 v50, v49, s58                                // 000000003464: D1340032 00007531
	v_add_u32_e32 v51, v51, v58                                // 00000000346C: 68667533
	v_add_u32_e64 v52, v51, s58                                // 000000003470: D1340034 00007533
	v_add_u32_e32 v53, v53, v58                                // 000000003478: 686A7535
	v_add_u32_e64 v54, v53, s58                                // 00000000347C: D1340036 00007535
	v_add_u32_e32 v55, v55, v58                                // 000000003484: 686E7537
	v_add_u32_e64 v56, v55, s58                                // 000000003488: D1340038 00007537
	v_add_u32_e32 v57, v57, v58                                // 000000003490: 68727539
	v_add_u32_e64 v58, v57, s58                                // 000000003494: D134003A 00007539
	v_add_u32_e32 v59, v59, v58                                // 00000000349C: 6876753B
	v_add_u32_e64 v60, v59, s58                                // 0000000034A0: D134003C 0000753B
	v_add_u32_e32 v61, v61, v58                                // 0000000034A8: 687A753D
	v_add_u32_e64 v62, v61, s58                                // 0000000034AC: D134003E 0000753D
	v_add_u32_e32 v63, v63, v58                                // 0000000034B4: 687E753F
	v_add_u32_e64 v64, v63, s58                                // 0000000034B8: D1340040 0000753F
	v_add_u32_e32 v65, v65, v58                                // 0000000034C0: 68827541
	v_add_u32_e64 v66, v65, s58                                // 0000000034C4: D1340042 00007541
	v_add_u32_e32 v67, v67, v58                                // 0000000034CC: 68867543
	v_add_u32_e64 v68, v67, s58                                // 0000000034D0: D1340044 00007543
	v_add_u32_e32 v69, v69, v58                                // 0000000034D8: 688A7545
	v_add_u32_e64 v70, v69, s58                                // 0000000034DC: D1340046 00007545
	v_add_u32_e32 v71, v71, v58                                // 0000000034E4: 688E7547
	v_add_u32_e64 v72, v71, s58                                // 0000000034E8: D1340048 00007547
	v_add_u32_e32 v73, v73, v58                                // 0000000034F0: 68927549
	v_add_u32_e64 v74, v73, s58                                // 0000000034F4: D134004A 00007549
	v_add_u32_e32 v75, v75, v58                                // 0000000034FC: 6896754B
	v_add_u32_e64 v76, v75, s58                                // 000000003500: D134004C 0000754B
	v_add_u32_e32 v77, v77, v58                                // 000000003508: 689A754D
	v_add_u32_e64 v78, v77, s58                                // 00000000350C: D134004E 0000754D
	v_add_u32_e32 v79, v79, v58                                // 000000003514: 689E754F
	v_add_u32_e64 v80, v79, s58                                // 000000003518: D1340050 0000754F
	v_add_u32_e32 v81, v81, v58                                // 000000003520: 68A27551
	v_add_u32_e64 v82, v81, s58                                // 000000003524: D1340052 00007551
	v_add_u32_e32 v83, v83, v58                                // 00000000352C: 68A67553
	v_add_u32_e64 v84, v83, s58                                // 000000003530: D1340054 00007553
	v_add_u32_e32 v85, v85, v58                                // 000000003538: 68AA7555
	v_add_u32_e64 v86, v85, s58                                // 00000000353C: D1340056 00007555
	v_add_u32_e32 v87, v87, v58                                // 000000003544: 68AE7557
	v_add_u32_e64 v88, v87, s58                                // 000000003548: D1340058 00007557
	v_add_u32_e32 v89, v89, v58                                // 000000003550: 68B27559
	v_add_u32_e64 v90, v89, s58                                // 000000003554: D134005A 00007559
	v_add_u32_e32 v91, v91, v58                                // 00000000355C: 68B6755B
	v_add_u32_e64 v92, v91, s58                                // 000000003560: D134005C 0000755B
	v_add_u32_e32 v93, v93, v58                                // 000000003568: 68BA755D
	v_add_u32_e64 v94, v93, s58                                // 00000000356C: D134005E 0000755D
	v_add_u32_e32 v95, v95, v58                                // 000000003574: 68BE755F
	v_add_u32_e64 v96, v95, s58                                // 000000003578: D1340060 0000755F
	v_add_u32_e32 v97, v97, v58                                // 000000003580: 68C27561
	v_add_u32_e64 v98, v97, s58                                // 000000003584: D1340062 00007561
	v_add_u32_e32 v99, v99, v58                                // 00000000358C: 68C67563
	v_add_u32_e64 v100, v99, s58                               // 000000003590: D1340064 00007563
	v_add_u32_e32 v101, v101, v58                              // 000000003598: 68CA7565
	v_add_u32_e64 v102, v101, s58                              // 00000000359C: D1340066 00007565
	v_add_u32_e32 v103, v103, v58                              // 0000000035A4: 68CE7567
	v_add_u32_e64 v104, v103, s58                              // 0000000035A8: D1340068 00007567
	v_add_u32_e32 v105, v105, v58                              // 0000000035B0: 68D27569
	v_add_u32_e64 v106, v105, s58                              // 0000000035B4: D134006A 00007569
	v_lshlrev_b32_e32 v58, 2, v0                               // 0000000035BC: 24740082
	s_mul_i32 s56, s78, s67                                    // 0000000035C0: 9238434E
	v_add_u32_e64 v96, v58, s56                                // 0000000035C4: D1340060 0000713A
	v_mov_b32_e32 v97, 0                                       // 0000000035CC: 7EC20280
	s_mul_i32 s56, s79, s67                                    // 0000000035D0: 9238434F
	v_add_u32_e64 v98, v58, s56                                // 0000000035D4: D1340062 0000713A
	v_mov_b32_e32 v99, 0                                       // 0000000035DC: 7EC60280
	s_mul_i32 s56, s80, s67                                    // 0000000035E0: 92384350
	v_add_u32_e64 v100, v58, s56                               // 0000000035E4: D1340064 0000713A
	v_mov_b32_e32 v101, 0                                      // 0000000035EC: 7ECA0280
	s_mul_i32 s56, s81, s67                                    // 0000000035F0: 92384351
	v_add_u32_e64 v102, v58, s56                               // 0000000035F4: D1340066 0000713A
	v_mov_b32_e32 v103, 0                                      // 0000000035FC: 7ECE0280
	s_mul_i32 s56, s82, s67                                    // 000000003600: 92384352
	v_add_u32_e64 v104, v58, s56                               // 000000003604: D1340068 0000713A
	v_mov_b32_e32 v105, 0                                      // 00000000360C: 7ED20280
	s_mul_i32 s56, s83, s67                                    // 000000003610: 92384353
	v_add_u32_e64 v106, v58, s56                               // 000000003614: D134006A 0000713A
	v_mov_b32_e32 v107, 0                                      // 00000000361C: 7ED60280
	s_mul_i32 s56, s84, s67                                    // 000000003620: 92384354
	v_add_u32_e64 v108, v58, s56                               // 000000003624: D134006C 0000713A
	v_mov_b32_e32 v109, 0                                      // 00000000362C: 7EDA0280
	s_mul_i32 s56, s85, s67                                    // 000000003630: 92384355
	v_add_u32_e64 v110, v58, s56                               // 000000003634: D134006E 0000713A
	v_mov_b32_e32 v111, 0                                      // 00000000363C: 7EDE0280
	s_mul_i32 s56, s86, s67                                    // 000000003640: 92384356
	v_add_u32_e64 v112, v58, s56                               // 000000003644: D1340070 0000713A
	v_mov_b32_e32 v113, 0                                      // 00000000364C: 7EE20280
	s_mul_i32 s56, s87, s67                                    // 000000003650: 92384357
	v_add_u32_e64 v114, v58, s56                               // 000000003654: D1340072 0000713A
	v_mov_b32_e32 v115, 0                                      // 00000000365C: 7EE60280
	s_mul_i32 s56, s88, s67                                    // 000000003660: 92384358
	v_add_u32_e64 v116, v58, s56                               // 000000003664: D1340074 0000713A
	v_mov_b32_e32 v117, 0                                      // 00000000366C: 7EEA0280
	s_mul_i32 s56, s89, s67                                    // 000000003670: 92384359
	v_add_u32_e64 v118, v58, s56                               // 000000003674: D1340076 0000713A
	v_mov_b32_e32 v119, 0                                      // 00000000367C: 7EEE0280
	s_mul_i32 s56, s90, s67                                    // 000000003680: 9238435A
	v_add_u32_e64 v120, v58, s56                               // 000000003684: D1340078 0000713A
	v_mov_b32_e32 v121, 0                                      // 00000000368C: 7EF20280
	s_mul_i32 s56, s91, s67                                    // 000000003690: 9238435B
	v_add_u32_e64 v122, v58, s56                               // 000000003694: D134007A 0000713A
	v_mov_b32_e32 v123, 0                                      // 00000000369C: 7EF60280
	s_mul_i32 s56, s92, s67                                    // 0000000036A0: 9238435C
	v_add_u32_e64 v124, v58, s56                               // 0000000036A4: D134007C 0000713A
	v_mov_b32_e32 v125, 0                                      // 0000000036AC: 7EFA0280
	s_mul_i32 s56, s93, s67                                    // 0000000036B0: 9238435D
	v_add_u32_e64 v126, v58, s56                               // 0000000036B4: D134007E 0000713A
	v_mov_b32_e32 v127, 0                                      // 0000000036BC: 7EFE0280
	s_mul_i32 s56, s7, 0x420                                   // 0000000036C0: 9238FF07 00000420
	s_add_u32 s48, 0, s56                                      // 0000000036C8: 80303880
	s_add_u32 s49, 0x2500, s48                                 // 0000000036CC: 803130FF 00002500
	s_add_u32 s50, 0x4a00, s56                                 // 0000000036D4: 803238FF 00004A00
	s_add_u32 s51, 0x2500, s50                                 // 0000000036DC: 803332FF 00002500
	v_and_b32_e32 v58, 15, v0                                  // 0000000036E4: 2674008F
	v_lshrrev_b32_e32 v59, 3, v58                              // 0000000036E8: 20767483
	v_mul_lo_u32 v59, 2, v59                                   // 0000000036EC: D285003B 00027682
	v_and_b32_e32 v58, 3, v0                                   // 0000000036F4: 26740083
	v_lshrrev_b32_e32 v60, 1, v58                              // 0000000036F8: 20787481
	v_add_u32_e32 v58, v59, v60                                // 0000000036FC: 6874793B
	v_mul_i32_i24_e32 v2, 0x420, v58                           // 000000003700: 0C0474FF 00000420
	v_and_b32_e32 v58, 7, v0                                   // 000000003708: 26740087
	v_lshrrev_b32_e32 v59, 2, v58                              // 00000000370C: 20767482
	v_mul_i32_i24_e32 v59, 0x100, v59                          // 000000003710: 0C7676FF 00000100
	v_and_b32_e32 v58, 1, v0                                   // 000000003718: 26740081
	v_mul_i32_i24_e32 v60, 0x80, v58                           // 00000000371C: 0C7874FF 00000080
	v_add_u32_e32 v2, v59, v2                                  // 000000003724: 6804053B
	v_add_u32_e32 v2, v60, v2                                  // 000000003728: 6804053C
	v_lshrrev_b32_e32 v58, 4, v0                               // 00000000372C: 20740084
	v_mul_lo_u32 v58, 16, v58                                  // 000000003730: D285003A 00027490
	v_add_u32_e32 v2, v58, v2                                  // 000000003738: 6804053A
	s_mul_i32 s56, s2, 0x80                                    // 00000000373C: 9238FF02 00000080
	s_mul_i32 s56, s56, s65                                    // 000000003744: 92384138
	s_mul_i32 s57, s5, s68                                     // 000000003748: 92394405
	s_add_u32 s56, s57, s56                                    // 00000000374C: 80383839
	s_add_u32 s24, s56, s24                                    // 000000003750: 80181838
	s_addc_u32 s25, 0, s25                                     // 000000003754: 82191980
	s_mul_i32 s56, s7, 16                                      // 000000003758: 92389007
	s_mul_i32 s56, s56, s65                                    // 00000000375C: 92384138
	v_lshlrev_b32_e32 v47, 4, v0                               // 000000003760: 245E0084
	v_add_u32_e32 v47, s56, v47                                // 000000003764: 685E5E38
	s_mul_i32 s56, 64, s65                                     // 000000003768: 923841C0
	v_add_u32_e32 v48, s56, v47                                // 00000000376C: 68605E38
	s_mov_b32 s96, s24                                         // 000000003770: BEE00018
	s_mov_b32 s97, s25                                         // 000000003774: BEE10019
	s_mov_b32 s98, s26                                         // 000000003778: BEE2001A
	s_mov_b32 s99, s27                                         // 00000000377C: BEE3001B
	s_mul_i32 s56, s65, s61                                    // 000000003780: 92383D41
	s_add_u32 s96, s56, s96                                    // 000000003784: 80606038
	s_addc_u32 s97, 0, s97                                     // 000000003788: 82616180
	s_mul_i32 s56, s2, 0x800                                   // 00000000378C: 9238FF02 00000800
	s_mul_i32 s57, s5, s69                                     // 000000003794: 92394505
	s_add_u32 s56, s57, s56                                    // 000000003798: 80383839
	s_add_u32 s12, s56, s12                                    // 00000000379C: 800C0C38
	s_addc_u32 s13, 0, s13                                     // 0000000037A0: 820D0D80
	s_mul_i32 s56, s7, 16                                      // 0000000037A4: 92389007
	s_mul_i32 s56, s56, s66                                    // 0000000037A8: 92384238
	v_lshlrev_b32_e32 v49, 4, v0                               // 0000000037AC: 24620084
	v_add_u32_e32 v49, s56, v49                                // 0000000037B0: 68626238
	s_mul_i32 s56, 64, s66                                     // 0000000037B4: 923842C0
	v_add_u32_e32 v50, s56, v49                                // 0000000037B8: 68646238
	v_add_u32_e32 v51, s56, v50                                // 0000000037BC: 68666438
	v_add_u32_e32 v52, s56, v51                                // 0000000037C0: 68686638
	s_mul_i32 s56, s66, 0x100                                  // 0000000037C4: 9238FF42 00000100
	s_mov_b32 s74, 0x800                                       // 0000000037CC: BECA00FF 00000800
	s_mul_i32 s57, s74, 0                                      // 0000000037D4: 9239804A
	s_sub_u32 s52, s56, s57                                    // 0000000037D8: 80B43938
	s_mul_i32 s56, s3, 64                                      // 0000000037DC: 9238C003
	s_mul_i32 s56, 4, s56                                      // 0000000037E0: 92383884
	s_add_u32 s40, s56, s40                                    // 0000000037E4: 80282838
	s_addc_u32 s41, 0, s41                                     // 0000000037E8: 82292980
	v_and_b32_e32 v58, 15, v0                                  // 0000000037EC: 2674008F
	v_lshlrev_b32_e32 v13, 2, v58                              // 0000000037F0: 241A7482
	v_add_u32_e32 v14, 64, v13                                 // 0000000037F4: 681C1AC0
	v_add_u32_e32 v15, 64, v14                                 // 0000000037F8: 681E1CC0
	v_add_u32_e32 v16, 64, v15                                 // 0000000037FC: 68201EC0
	s_lshr_b32 s56, s60, 7                                     // 000000003800: 8F38873C
	s_mul_i32 s57, s56, 4                                      // 000000003804: 92398438
	v_and_b32_e64 v17, v0, 0                                   // 000000003808: D1130011 00010100
	v_mul_lo_u32 v17, v17, s57                                 // 000000003810: D2850011 00007311
	v_and_b32_e64 v58, v0, 3                                   // 000000003818: D113003A 00010700
	v_lshrrev_b32_e32 v58, 1, v58                              // 000000003820: 20747481
	v_mul_lo_u32 v58, 4, v58                                   // 000000003824: D285003A 00027484
	v_add_u32_e32 v17, v17, v58                                // 00000000382C: 68227511
	s_lshr_b32 s56, s61, 7                                     // 000000003830: 8F38873D
	s_mul_i32 s56, s56, s57                                    // 000000003834: 92383938
	v_add_u32_e64 v19, v17, s56                                // 000000003838: D1340013 00007111
	s_mov_b32 s4, 8                                            // 000000003840: BE840088
	s_mul_i32 s56, s2, 1                                       // 000000003844: 92388102
	s_mul_i32 s56, s56, s57                                    // 000000003848: 92383938
	s_mul_i32 s57, s5, s70                                     // 00000000384C: 92394605
	s_add_u32 s57, s57, s56                                    // 000000003850: 80393839
	s_add_u32 s32, s57, s32                                    // 000000003854: 80202039
	s_addc_u32 s33, 0, s33                                     // 000000003858: 82212180
	s_lshr_b32 s56, s61, 7                                     // 00000000385C: 8F38873D
	s_mul_i32 s57, s56, 4                                      // 000000003860: 92398438
	s_mul_i32 s56, s2, 1                                       // 000000003864: 92388102
	s_mul_i32 s56, s56, 4                                      // 000000003868: 92388438
	v_and_b32_e64 v8, v0, 1                                    // 00000000386C: D1130008 00010300
	v_mul_lo_u32 v8, v8, s57                                   // 000000003874: D2850008 00007308
	v_and_b32_e64 v58, v0, 1                                   // 00000000387C: D113003A 00010300
	v_lshrrev_b32_e32 v58, 1, v58                              // 000000003884: 20747481
	v_mul_lo_u32 v58, 4, v58                                   // 000000003888: D285003A 00027484
	v_add_i32 v8, v8, v58                                      // 000000003890: D29C0008 00027508
	v_add_i32 v8, v8, s56                                      // 000000003898: D29C0008 00007108
	s_mul_i32 s56, s5, s71                                     // 0000000038A0: 92384705
	s_add_u32 s16, s56, s16                                    // 0000000038A4: 80101038
	s_addc_u32 s17, 0, s17                                     // 0000000038A8: 82111180
	s_mov_b32 s53, 0x100                                       // 0000000038AC: BEB500FF 00000100
	s_mov_b32 s54, 0x1000                                      // 0000000038B4: BEB600FF 00001000
	s_mul_i32 s75, 2, s57                                      // 0000000038BC: 924B3982
	s_mov_b32 s55, 0x200                                       // 0000000038C0: BEB700FF 00000200
	s_mov_b32 s94, s54                                         // 0000000038C8: BEDE0036
	s_mov_b32 s6, 0x3fb8aa3b                                   // 0000000038CC: BE8600FF 3FB8AA3B
	s_mov_b32 m0, s48                                          // 0000000038D4: BEFC0030
	v_mov_b32_e32 v1, 0xbfcc4231                               // 0000000038D8: 7E0202FF BFCC4231
	v_mov_b32_e32 v54, 0xffff0000                              // 0000000038E0: 7E6C02FF FFFF0000
	v_mov_b32_e32 v55, 0x7fff0000                              // 0000000038E8: 7E6E02FF 7FFF0000
	v_mov_b32_e32 v56, 0x7fff                                  // 0000000038F0: 7E7002FF 00007FFF
	s_waitcnt vmcnt(0) expcnt(0) lgkmcnt(0)                    // 0000000038F8: BF8C0000
	v_and_b32_e32 v9, 0xffffff, v9                             // 0000000038FC: 261212FF 00FFFFFF
	v_lshlrev_b32_e32 v9, 2, v9                                // 000000003904: 24121282
	v_and_b32_e32 v10, 0xffffff, v10                           // 000000003908: 261414FF 00FFFFFF
	v_lshlrev_b32_e32 v10, 2, v10                              // 000000003910: 24141482
	v_and_b32_e32 v11, 0xffffff, v11                           // 000000003914: 261616FF 00FFFFFF
	v_lshlrev_b32_e32 v11, 2, v11                              // 00000000391C: 24161682
	v_and_b32_e32 v12, 0xffffff, v12                           // 000000003920: 261818FF 00FFFFFF
	v_lshlrev_b32_e32 v12, 2, v12                              // 000000003928: 24181882
	s_lshr_b32 s56, s7, 1                                      // 00000000392C: 8F388107
	s_lshl_b32 s3, s62, 2                                      // 000000003930: 8E03823E
	s_mul_i32 s56, s56, s3                                     // 000000003934: 92380338
	s_add_u32 s28, s28, s56                                    // 000000003938: 801C381C
	s_addc_u32 s29, 0, s29                                     // 00000000393C: 821D1D80
	s_mov_b32 s30, s3                                          // 000000003940: BE9E0003
	s_lshl_b32 s3, s3, 1                                       // 000000003944: 8E038103
	s_and_b32 s57, s7, 1                                       // 000000003948: 86398107
	s_cmp_eq_u32 s57, 1                                        // 00000000394C: BF068139
	s_cselect_b32 s56, 0, 1                                    // 000000003950: 85388180
	v_mul_lo_u32 v58, v9, s56                                  // 000000003954: D285003A 00007109
	v_mul_lo_u32 v59, v10, s57                                 // 00000000395C: D285003B 0000730A
	v_add_u32_e32 v58, v58, v59                                // 000000003964: 6874773A
	v_mov_b32_e32 v9, v58                                      // 000000003968: 7E12033A
	v_mul_lo_u32 v58, v11, s56                                 // 00000000396C: D285003A 0000710B
	v_mul_lo_u32 v59, v12, s57                                 // 000000003974: D285003B 0000730C
	v_add_u32_e32 v58, v58, v59                                // 00000000397C: 6874773A
	v_mov_b32_e32 v11, v58                                     // 000000003980: 7E16033A
	s_mul_i32 s56, s7, 0x100                                   // 000000003984: 9238FF07 00000100
	s_sub_u32 s57, 4, s7                                       // 00000000398C: 80B90784
	s_mul_i32 s57, s57, 0x420                                  // 000000003990: 9239FF39 00000420
	s_add_u32 s72, s56, s57                                    // 000000003998: 80483938
	v_lshlrev_b32_e32 v3, 2, v0                                // 00000000399C: 24060082
	buffer_load_dword v37, v17, s[32:35], 0 offen              // 0000000039A0: E0501000 80082511
	buffer_load_dword v39, v13, s[40:43], 0 offen              // 0000000039A8: E0501000 800A270D
	buffer_load_dword v40, v14, s[40:43], 0 offen              // 0000000039B0: E0501000 800A280E
	buffer_load_dword v41, v15, s[40:43], 0 offen              // 0000000039B8: E0501000 800A290F
	buffer_load_dword v42, v16, s[40:43], 0 offen              // 0000000039C0: E0501000 800A2A10
	buffer_load_dwordx4 v43, s[20:23], 0 offen lds             // 0000000039C8: E05D1000 8005002B
	s_add_u32 m0, 0x1080, s48                                  // 0000000039D0: 807C30FF 00001080
	buffer_load_dwordx4 v44, s[20:23], 0 offen lds             // 0000000039D8: E05D1000 8005002C
	s_add_u32 m0, 0, s50                                       // 0000000039E0: 807C3280
	buffer_load_dwordx4 v45, s[20:23], 0 offen lds             // 0000000039E4: E05D1000 8005002D
	s_add_u32 m0, 0x1080, s50                                  // 0000000039EC: 807C32FF 00001080
	buffer_load_dwordx4 v46, s[20:23], 0 offen lds             // 0000000039F4: E05D1000 8005002E
	s_add_u32 m0, 0x1080, s48                                  // 0000000039FC: 807C30FF 00001080
	s_add_u32 m0, m0, s72                                      // 000000003A04: 807C487C
	buffer_load_dword v9, s[28:31], 0 offen lds                // 000000003A08: E0511000 80070009
	s_add_u32 m0, m0, 0x4a00                                   // 000000003A10: 807CFF7C 00004A00
	buffer_load_dword v11, s[28:31], 0 offen lds               // 000000003A18: E0511000 8007000B
	s_add_u32 m0, 0, s49                                       // 000000003A20: 807C3180
	s_add_u32 s20, s53, s20                                    // 000000003A24: 80141435
	s_addc_u32 s21, 0, s21                                     // 000000003A28: 82151580
	s_add_u32 s28, s3, s28                                     // 000000003A2C: 801C1C03
	s_addc_u32 s29, 0, s29                                     // 000000003A30: 821D1D80
	buffer_load_dwordx4 a[0:3], v47, s[24:27], 0 offen         // 000000003A34: E05C1000 8086002F
	buffer_load_dwordx4 a[4:7], v47, s[24:27], 0 offen offset:1024// 000000003A3C: E05C1400 8086042F
	buffer_load_dwordx4 a[8:11], v48, s[24:27], 0 offen        // 000000003A44: E05C1000 80860830
	buffer_load_dwordx4 a[12:15], v48, s[24:27], 0 offen offset:1024// 000000003A4C: E05C1400 80860C30
	buffer_load_dwordx4 a[16:19], v47, s[24:27], 0 offen offset:2048// 000000003A54: E05C1800 8086102F
	buffer_load_dwordx4 a[20:23], v47, s[24:27], 0 offen offset:3072// 000000003A5C: E05C1C00 8086142F
	buffer_load_dwordx4 a[24:27], v48, s[24:27], 0 offen offset:2048// 000000003A64: E05C1800 80861830
	buffer_load_dwordx4 a[28:31], v48, s[24:27], 0 offen offset:3072// 000000003A6C: E05C1C00 80861C30
	s_add_u32 s24, s54, s24                                    // 000000003A74: 80181836
	s_addc_u32 s25, 0, s25                                     // 000000003A78: 82191980
	v_mov_b32_e32 v64, 0                                       // 000000003A7C: 7E800280
	v_mov_b32_e32 v96, 0                                       // 000000003A80: 7EC00280
	v_mov_b32_e32 v65, 0                                       // 000000003A84: 7E820280
	v_mov_b32_e32 v97, 0                                       // 000000003A88: 7EC20280
	v_mov_b32_e32 v66, 0                                       // 000000003A8C: 7E840280
	v_mov_b32_e32 v98, 0                                       // 000000003A90: 7EC40280
	v_mov_b32_e32 v67, 0                                       // 000000003A94: 7E860280
	v_mov_b32_e32 v99, 0                                       // 000000003A98: 7EC60280
	v_mov_b32_e32 v68, 0                                       // 000000003A9C: 7E880280
	v_mov_b32_e32 v100, 0                                      // 000000003AA0: 7EC80280
	v_mov_b32_e32 v69, 0                                       // 000000003AA4: 7E8A0280
	v_mov_b32_e32 v101, 0                                      // 000000003AA8: 7ECA0280
	v_mov_b32_e32 v70, 0                                       // 000000003AAC: 7E8C0280
	v_mov_b32_e32 v102, 0                                      // 000000003AB0: 7ECC0280
	v_mov_b32_e32 v71, 0                                       // 000000003AB4: 7E8E0280
	v_mov_b32_e32 v103, 0                                      // 000000003AB8: 7ECE0280
	v_mov_b32_e32 v72, 0                                       // 000000003ABC: 7E900280
	v_mov_b32_e32 v104, 0                                      // 000000003AC0: 7ED00280
	v_mov_b32_e32 v73, 0                                       // 000000003AC4: 7E920280
	v_mov_b32_e32 v105, 0                                      // 000000003AC8: 7ED20280
	v_mov_b32_e32 v74, 0                                       // 000000003ACC: 7E940280
	v_mov_b32_e32 v106, 0                                      // 000000003AD0: 7ED40280
	v_mov_b32_e32 v75, 0                                       // 000000003AD4: 7E960280
	v_mov_b32_e32 v107, 0                                      // 000000003AD8: 7ED60280
	v_mov_b32_e32 v76, 0                                       // 000000003ADC: 7E980280
	v_mov_b32_e32 v108, 0                                      // 000000003AE0: 7ED80280
	v_mov_b32_e32 v77, 0                                       // 000000003AE4: 7E9A0280
	v_mov_b32_e32 v109, 0                                      // 000000003AE8: 7EDA0280
	v_mov_b32_e32 v78, 0                                       // 000000003AEC: 7E9C0280
	v_mov_b32_e32 v110, 0                                      // 000000003AF0: 7EDC0280
	v_mov_b32_e32 v79, 0                                       // 000000003AF4: 7E9E0280
	v_mov_b32_e32 v111, 0                                      // 000000003AF8: 7EDE0280
	v_mov_b32_e32 v80, 0                                       // 000000003AFC: 7EA00280
	v_mov_b32_e32 v112, 0                                      // 000000003B00: 7EE00280
	v_mov_b32_e32 v81, 0                                       // 000000003B04: 7EA20280
	v_mov_b32_e32 v113, 0                                      // 000000003B08: 7EE20280
	v_mov_b32_e32 v82, 0                                       // 000000003B0C: 7EA40280
	v_mov_b32_e32 v114, 0                                      // 000000003B10: 7EE40280
	v_mov_b32_e32 v83, 0                                       // 000000003B14: 7EA60280
	v_mov_b32_e32 v115, 0                                      // 000000003B18: 7EE60280
	v_mov_b32_e32 v84, 0                                       // 000000003B1C: 7EA80280
	v_mov_b32_e32 v116, 0                                      // 000000003B20: 7EE80280
	v_mov_b32_e32 v85, 0                                       // 000000003B24: 7EAA0280
	v_mov_b32_e32 v117, 0                                      // 000000003B28: 7EEA0280
	v_mov_b32_e32 v86, 0                                       // 000000003B2C: 7EAC0280
	v_mov_b32_e32 v118, 0                                      // 000000003B30: 7EEC0280
	v_mov_b32_e32 v87, 0                                       // 000000003B34: 7EAE0280
	v_mov_b32_e32 v119, 0                                      // 000000003B38: 7EEE0280
	v_mov_b32_e32 v88, 0                                       // 000000003B3C: 7EB00280
	v_mov_b32_e32 v120, 0                                      // 000000003B40: 7EF00280
	v_mov_b32_e32 v89, 0                                       // 000000003B44: 7EB20280
	v_mov_b32_e32 v121, 0                                      // 000000003B48: 7EF20280
	v_mov_b32_e32 v90, 0                                       // 000000003B4C: 7EB40280
	v_mov_b32_e32 v122, 0                                      // 000000003B50: 7EF40280
	v_mov_b32_e32 v91, 0                                       // 000000003B54: 7EB60280
	v_mov_b32_e32 v123, 0                                      // 000000003B58: 7EF60280
	v_mov_b32_e32 v92, 0                                       // 000000003B5C: 7EB80280
	v_mov_b32_e32 v124, 0                                      // 000000003B60: 7EF80280
	v_mov_b32_e32 v93, 0                                       // 000000003B64: 7EBA0280
	v_mov_b32_e32 v125, 0                                      // 000000003B68: 7EFA0280
	v_mov_b32_e32 v94, 0                                       // 000000003B6C: 7EBC0280
	v_mov_b32_e32 v126, 0                                      // 000000003B70: 7EFC0280
	v_mov_b32_e32 v95, 0                                       // 000000003B74: 7EBE0280
	v_mov_b32_e32 v127, 0                                      // 000000003B78: 7EFE0280
	v_mov_b32_e32 v96, 0                                       // 000000003B7C: 7EC00280
	v_mov_b32_e32 v128, 0                                      // 000000003B80: 7F000280
	v_mov_b32_e32 v97, 0                                       // 000000003B84: 7EC20280
	v_mov_b32_e32 v129, 0                                      // 000000003B88: 7F020280
	v_mov_b32_e32 v98, 0                                       // 000000003B8C: 7EC40280
	v_mov_b32_e32 v130, 0                                      // 000000003B90: 7F040280
	v_mov_b32_e32 v99, 0                                       // 000000003B94: 7EC60280
	v_mov_b32_e32 v131, 0                                      // 000000003B98: 7F060280
	v_mov_b32_e32 v100, 0                                      // 000000003B9C: 7EC80280
	v_mov_b32_e32 v132, 0                                      // 000000003BA0: 7F080280
	v_mov_b32_e32 v101, 0                                      // 000000003BA4: 7ECA0280
	v_mov_b32_e32 v133, 0                                      // 000000003BA8: 7F0A0280
	v_mov_b32_e32 v102, 0                                      // 000000003BAC: 7ECC0280
	v_mov_b32_e32 v134, 0                                      // 000000003BB0: 7F0C0280
	v_mov_b32_e32 v103, 0                                      // 000000003BB4: 7ECE0280
	v_mov_b32_e32 v135, 0                                      // 000000003BB8: 7F0E0280
	v_mov_b32_e32 v104, 0                                      // 000000003BBC: 7ED00280
	v_mov_b32_e32 v136, 0                                      // 000000003BC0: 7F100280
	v_mov_b32_e32 v105, 0                                      // 000000003BC4: 7ED20280
	v_mov_b32_e32 v137, 0                                      // 000000003BC8: 7F120280
	v_mov_b32_e32 v106, 0                                      // 000000003BCC: 7ED40280
	v_mov_b32_e32 v138, 0                                      // 000000003BD0: 7F140280
	v_mov_b32_e32 v107, 0                                      // 000000003BD4: 7ED60280
	v_mov_b32_e32 v139, 0                                      // 000000003BD8: 7F160280
	v_mov_b32_e32 v108, 0                                      // 000000003BDC: 7ED80280
	v_mov_b32_e32 v140, 0                                      // 000000003BE0: 7F180280
	v_mov_b32_e32 v109, 0                                      // 000000003BE4: 7EDA0280
	v_mov_b32_e32 v141, 0                                      // 000000003BE8: 7F1A0280
	v_mov_b32_e32 v110, 0                                      // 000000003BEC: 7EDC0280
	v_mov_b32_e32 v142, 0                                      // 000000003BF0: 7F1C0280
	v_mov_b32_e32 v111, 0                                      // 000000003BF4: 7EDE0280
	v_mov_b32_e32 v143, 0                                      // 000000003BF8: 7F1E0280
	v_mov_b32_e32 v112, 0                                      // 000000003BFC: 7EE00280
	v_mov_b32_e32 v144, 0                                      // 000000003C00: 7F200280
	v_mov_b32_e32 v113, 0                                      // 000000003C04: 7EE20280
	v_mov_b32_e32 v145, 0                                      // 000000003C08: 7F220280
	v_mov_b32_e32 v114, 0                                      // 000000003C0C: 7EE40280
	v_mov_b32_e32 v146, 0                                      // 000000003C10: 7F240280
	v_mov_b32_e32 v115, 0                                      // 000000003C14: 7EE60280
	v_mov_b32_e32 v147, 0                                      // 000000003C18: 7F260280
	v_mov_b32_e32 v116, 0                                      // 000000003C1C: 7EE80280
	v_mov_b32_e32 v148, 0                                      // 000000003C20: 7F280280
	v_mov_b32_e32 v117, 0                                      // 000000003C24: 7EEA0280
	v_mov_b32_e32 v149, 0                                      // 000000003C28: 7F2A0280
	v_mov_b32_e32 v118, 0                                      // 000000003C2C: 7EEC0280
	v_mov_b32_e32 v150, 0                                      // 000000003C30: 7F2C0280
	v_mov_b32_e32 v119, 0                                      // 000000003C34: 7EEE0280
	v_mov_b32_e32 v151, 0                                      // 000000003C38: 7F2E0280
	v_mov_b32_e32 v120, 0                                      // 000000003C3C: 7EF00280
	v_mov_b32_e32 v152, 0                                      // 000000003C40: 7F300280
	v_mov_b32_e32 v121, 0                                      // 000000003C44: 7EF20280
	v_mov_b32_e32 v153, 0                                      // 000000003C48: 7F320280
	v_mov_b32_e32 v122, 0                                      // 000000003C4C: 7EF40280
	v_mov_b32_e32 v154, 0                                      // 000000003C50: 7F340280
	v_mov_b32_e32 v123, 0                                      // 000000003C54: 7EF60280
	v_mov_b32_e32 v155, 0                                      // 000000003C58: 7F360280
	v_mov_b32_e32 v124, 0                                      // 000000003C5C: 7EF80280
	v_mov_b32_e32 v156, 0                                      // 000000003C60: 7F380280
	v_mov_b32_e32 v125, 0                                      // 000000003C64: 7EFA0280
	v_mov_b32_e32 v157, 0                                      // 000000003C68: 7F3A0280
	v_mov_b32_e32 v126, 0                                      // 000000003C6C: 7EFC0280
	v_mov_b32_e32 v158, 0                                      // 000000003C70: 7F3C0280
	v_mov_b32_e32 v127, 0                                      // 000000003C74: 7EFE0280
	v_mov_b32_e32 v159, 0                                      // 000000003C78: 7F3E0280
	v_lshrrev_b32_e32 v58, 4, v0                               // 000000003C7C: 20740084
	v_mul_lo_u32 v4, 34, v58                                   // 000000003C80: D2850004 000274A2
	v_and_b32_e32 v58, 15, v0                                  // 000000003C88: 2674008F
	v_mul_lo_u32 v59, 2, v58                                   // 000000003C8C: D285003B 00027482
	v_add_u32_e32 v4, v59, v4                                  // 000000003C94: 6808093B
	s_mul_i32 s56, s7, 0x88                                    // 000000003C98: 9238FF07 00000088
	v_add_u32_e32 v4, s56, v4                                  // 000000003CA0: 68080838
	v_mov_b32_e32 v5, v4                                       // 000000003CA4: 7E0A0304
	v_mov_b32_e32 v58, 0                                       // 000000003CA8: 7E740280
	v_mov_b32_e32 v59, 0x1280                                  // 000000003CAC: 7E7602FF 00001280
	v_add_u32_e32 v4, v4, v58                                  // 000000003CB4: 68087504
	v_add_u32_e32 v5, v5, v59                                  // 000000003CB8: 680A7705
	v_lshlrev_b32_e32 v4, 2, v4                                // 000000003CBC: 24080882
	v_lshlrev_b32_e32 v5, 2, v5                                // 000000003CC0: 240A0A82
	v_lshrrev_b32_e32 v58, 1, v0                               // 000000003CC4: 20740081
	v_mul_lo_u32 v6, 34, v58                                   // 000000003CC8: D2850006 000274A2
	v_and_b32_e32 v59, 1, v0                                   // 000000003CD0: 26760081
	v_add_u32_e32 v6, v59, v6                                  // 000000003CD4: 680C0D3B
	s_mov_b32 s56, 0                                           // 000000003CD8: BEB80080
	s_lshr_b32 s57, s7, 1                                      // 000000003CDC: 8F398107
	s_mul_i32 s57, s57, 8                                      // 000000003CE0: 92398839
	s_add_u32 s56, s57, s56                                    // 000000003CE4: 80383839
	s_and_b32 s57, s7, 1                                       // 000000003CE8: 86398107
	s_mul_i32 s57, s57, 2                                      // 000000003CEC: 92398239
	s_add_u32 s56, s57, s56                                    // 000000003CF0: 80383839
	s_mul_i32 s56, 2, s56                                      // 000000003CF4: 92383882
	v_add_u32_e32 v6, s56, v6                                  // 000000003CF8: 680C0C38
	v_mov_b32_e32 v7, v6                                       // 000000003CFC: 7E0E0306
	v_mov_b32_e32 v58, 0                                       // 000000003D00: 7E740280
	v_mov_b32_e32 v59, 0x1280                                  // 000000003D04: 7E7602FF 00001280
	v_add_u32_e32 v6, v6, v58                                  // 000000003D0C: 680C7506
	v_add_u32_e32 v7, v7, v59                                  // 000000003D10: 680E7707
	v_lshlrev_b32_e32 v6, 2, v6                                // 000000003D14: 240C0C82
	v_lshlrev_b32_e32 v7, 2, v7                                // 000000003D18: 240E0E82
	s_waitcnt vmcnt(8)                                         // 000000003D1C: BF8C0F78
	s_barrier                                                  // 000000003D20: BF8A0000
	ds_read_b128 a[64:67], v2                                  // 000000003D24: DBFE0000 40000002
	ds_read_b128 a[68:71], v2 offset:64                        // 000000003D2C: DBFE0040 44000002
	ds_read_b128 a[72:75], v2 offset:4224                      // 000000003D34: DBFE1080 48000002
	ds_read_b128 a[76:79], v2 offset:4288                      // 000000003D3C: DBFE10C0 4C000002
	ds_read_b128 a[80:83], v2 offset:512                       // 000000003D44: DBFE0200 50000002
	ds_read_b128 a[84:87], v2 offset:576                       // 000000003D4C: DBFE0240 54000002
	ds_read_b128 a[88:91], v2 offset:4736                      // 000000003D54: DBFE1280 58000002
	ds_read_b128 a[92:95], v2 offset:4800                      // 000000003D5C: DBFE12C0 5C000002
	ds_read_b128 a[96:99], v2 offset:18944                     // 000000003D64: DBFE4A00 60000002
	ds_read_b128 a[100:103], v2 offset:19008                   // 000000003D6C: DBFE4A40 64000002
	ds_read_b128 a[104:107], v2 offset:23168                   // 000000003D74: DBFE5A80 68000002
	ds_read_b128 a[108:111], v2 offset:23232                   // 000000003D7C: DBFE5AC0 6C000002
	ds_read_b128 a[112:115], v2 offset:19456                   // 000000003D84: DBFE4C00 70000002
	ds_read_b128 a[116:119], v2 offset:19520                   // 000000003D8C: DBFE4C40 74000002
	ds_read_b128 a[120:123], v2 offset:23680                   // 000000003D94: DBFE5C80 78000002
	ds_read_b128 a[124:127], v2 offset:23744                   // 000000003D9C: DBFE5CC0 7C000002
	ds_read_b32 v21, v3 offset:8448                            // 000000003DA4: D86C2100 15000003
	ds_read_b32 v22, v3 offset:8704                            // 000000003DAC: D86C2200 16000003
	ds_read_b32 v23, v3 offset:27392                           // 000000003DB4: D86C6B00 17000003
	ds_read_b32 v24, v3 offset:27648                           // 000000003DBC: D86C6C00 18000003
	ds_read_b32 v25, v3 offset:8960                            // 000000003DC4: D86C2300 19000003
	ds_read_b32 v26, v3 offset:9216                            // 000000003DCC: D86C2400 1A000003
	ds_read_b32 v27, v3 offset:27904                           // 000000003DD4: D86C6D00 1B000003
	ds_read_b32 v28, v3 offset:28160                           // 000000003DDC: D86C6E00 1C000003
	s_cmp_lt_i32 s7, 2                                         // 000000003DE4: BF048207
	s_cbranch_scc0 label_0E56                                  // 000000003DE8: BF840A5B

0000000000003dec <label_03FB>:
	s_waitcnt vmcnt(6) lgkmcnt(0)                              // 000000003DEC: BF8C0076
	s_barrier                                                  // 000000003DF0: BF8A0000
	v_mfma_f32_16x16x128_f8f6f4 v[128:131], a[0:7], a[64:71], 0// 000000003DF4: D3AD0080 1A028100
	v_mfma_f32_16x16x128_f8f6f4 v[132:135], a[0:7], a[80:87], 0// 000000003DFC: D3AD0084 1A02A100
	buffer_load_dwordx4 v43, s[20:23], 0 offen lds             // 000000003E04: E05D1000 8005002B
	s_add_u32 m0, 0x1080, s49                                  // 000000003E0C: 807C31FF 00001080
	buffer_load_dwordx4 v44, s[20:23], 0 offen lds             // 000000003E14: E05D1000 8005002C
	s_add_u32 m0, 0, s51                                       // 000000003E1C: 807C3380
	buffer_load_dwordx4 v45, s[20:23], 0 offen lds             // 000000003E20: E05D1000 8005002D
	s_add_u32 m0, 0x1080, s51                                  // 000000003E28: 807C33FF 00001080
	buffer_load_dwordx4 v46, s[20:23], 0 offen lds             // 000000003E30: E05D1000 8005002E
	s_add_u32 m0, 0x1080, s49                                  // 000000003E38: 807C31FF 00001080
	s_add_u32 m0, m0, s72                                      // 000000003E40: 807C487C
	buffer_load_dword v9, s[28:31], 0 offen lds                // 000000003E44: E0511000 80070009
	s_add_u32 m0, m0, 0x4a00                                   // 000000003E4C: 807CFF7C 00004A00
	buffer_load_dword v11, s[28:31], 0 offen lds               // 000000003E54: E0511000 8007000B
	s_add_u32 m0, 0, s48                                       // 000000003E5C: 807C3080
	buffer_load_dword v38, v19, s[32:35], 0 offen              // 000000003E60: E0501000 80082613
	buffer_load_dwordx4 a[32:35], v47, s[96:99], 0 offen       // 000000003E68: E05C1000 8098202F
	buffer_load_dwordx4 a[36:39], v47, s[96:99], 0 offen offset:1024// 000000003E70: E05C1400 8098242F
	v_mfma_f32_16x16x128_f8f6f4 v[136:139], a[0:7], a[96:103], 0// 000000003E78: D3AD0088 1A02C100
	v_mfma_f32_16x16x128_f8f6f4 v[140:143], a[0:7], a[112:119], 0// 000000003E80: D3AD008C 1A02E100
	buffer_load_dwordx4 a[40:43], v48, s[96:99], 0 offen       // 000000003E88: E05C1000 80982830
	buffer_load_dwordx4 a[44:47], v48, s[96:99], 0 offen offset:1024// 000000003E90: E05C1400 80982C30
	s_waitcnt vmcnt(15)                                        // 000000003E98: BF8C0F7F
	v_mfma_f32_16x16x128_f8f6f4 v[144:147], a[8:15], a[64:71], 0// 000000003E9C: D3AD0090 1A028108
	v_mfma_f32_16x16x128_f8f6f4 v[148:151], a[8:15], a[80:87], 0// 000000003EA4: D3AD0094 1A02A108
	buffer_load_dwordx4 a[48:51], v47, s[96:99], 0 offen offset:2048// 000000003EAC: E05C1800 8098302F
	buffer_load_dwordx4 a[52:55], v47, s[96:99], 0 offen offset:3072// 000000003EB4: E05C1C00 8098342F
	v_mfma_f32_16x16x128_f8f6f4 v[152:155], a[8:15], a[96:103], 0// 000000003EBC: D3AD0098 1A02C108
	v_mfma_f32_16x16x128_f8f6f4 v[156:159], a[8:15], a[112:119], 0// 000000003EC4: D3AD009C 1A02E108
	buffer_load_dwordx4 a[56:59], v48, s[96:99], 0 offen offset:2048// 000000003ECC: E05C1800 80983830
	buffer_load_dwordx4 a[60:63], v48, s[96:99], 0 offen offset:3072// 000000003ED4: E05C1C00 80983C30
	v_mul_f32_dpp v58, v37, v21 row_newbcast:0 row_mask:0xf bank_mask:0xf// 000000003EDC: 0A742AFA FF015025
	v_mov_b32_e32 v59, v58                                     // 000000003EE4: 7E76033A
	v_pk_fma_f32 v[64:65], v[128:129], v[58:59], v[64:65]      // 000000003EE8: D3B04040 1D027580
	v_pk_fma_f32 v[66:67], v[130:131], v[58:59], v[66:67]      // 000000003EF0: D3B04042 1D0A7582
	v_pk_fma_f32 v[80:81], v[144:145], v[58:59], v[80:81]      // 000000003EF8: D3B04050 1D427590
	v_pk_fma_f32 v[82:83], v[146:147], v[58:59], v[82:83]      // 000000003F00: D3B04052 1D4A7592
	v_mul_f32_dpp v58, v37, v22 row_newbcast:0 row_mask:0xf bank_mask:0xf// 000000003F08: 0A742CFA FF015025
	v_mov_b32_e32 v59, v58                                     // 000000003F10: 7E76033A
	v_pk_fma_f32 v[68:69], v[132:133], v[58:59], v[68:69]      // 000000003F14: D3B04044 1D127584
	v_pk_fma_f32 v[70:71], v[134:135], v[58:59], v[70:71]      // 000000003F1C: D3B04046 1D1A7586
	v_pk_fma_f32 v[84:85], v[148:149], v[58:59], v[84:85]      // 000000003F24: D3B04054 1D527594
	v_pk_fma_f32 v[86:87], v[150:151], v[58:59], v[86:87]      // 000000003F2C: D3B04056 1D5A7596
	v_mul_f32_dpp v58, v37, v23 row_newbcast:0 row_mask:0xf bank_mask:0xf// 000000003F34: 0A742EFA FF015025
	v_mov_b32_e32 v59, v58                                     // 000000003F3C: 7E76033A
	v_pk_fma_f32 v[72:73], v[136:137], v[58:59], v[72:73]      // 000000003F40: D3B04048 1D227588
	v_pk_fma_f32 v[74:75], v[138:139], v[58:59], v[74:75]      // 000000003F48: D3B0404A 1D2A758A
	v_pk_fma_f32 v[88:89], v[152:153], v[58:59], v[88:89]      // 000000003F50: D3B04058 1D627598
	v_pk_fma_f32 v[90:91], v[154:155], v[58:59], v[90:91]      // 000000003F58: D3B0405A 1D6A759A
	v_mul_f32_dpp v58, v37, v24 row_newbcast:0 row_mask:0xf bank_mask:0xf// 000000003F60: 0A7430FA FF015025
	v_mov_b32_e32 v59, v58                                     // 000000003F68: 7E76033A
	v_pk_fma_f32 v[76:77], v[140:141], v[58:59], v[76:77]      // 000000003F6C: D3B0404C 1D32758C
	v_pk_fma_f32 v[78:79], v[142:143], v[58:59], v[78:79]      // 000000003F74: D3B0404E 1D3A758E
	v_pk_fma_f32 v[92:93], v[156:157], v[58:59], v[92:93]      // 000000003F7C: D3B0405C 1D72759C
	v_pk_fma_f32 v[94:95], v[158:159], v[58:59], v[94:95]      // 000000003F84: D3B0405E 1D7A759E
	s_waitcnt vmcnt(17)                                        // 000000003F8C: BF8C4F71
	v_mfma_f32_16x16x128_f8f6f4 v[128:131], a[16:23], a[72:79], 0// 000000003F90: D3AD0080 1A029110
	v_mfma_f32_16x16x128_f8f6f4 v[132:135], a[16:23], a[88:95], 0// 000000003F98: D3AD0084 1A02B110
	v_mfma_f32_16x16x128_f8f6f4 v[136:139], a[16:23], a[104:111], 0// 000000003FA0: D3AD0088 1A02D110
	v_mfma_f32_16x16x128_f8f6f4 v[140:143], a[16:23], a[120:127], 0// 000000003FA8: D3AD008C 1A02F110
	s_waitcnt vmcnt(15)                                        // 000000003FB0: BF8C0F7F
	v_mfma_f32_16x16x128_f8f6f4 v[144:147], a[24:31], a[72:79], 0// 000000003FB4: D3AD0090 1A029118
	v_mfma_f32_16x16x128_f8f6f4 v[148:151], a[24:31], a[88:95], 0// 000000003FBC: D3AD0094 1A02B118
	v_mfma_f32_16x16x128_f8f6f4 v[152:155], a[24:31], a[104:111], 0// 000000003FC4: D3AD0098 1A02D118
	v_mfma_f32_16x16x128_f8f6f4 v[156:159], a[24:31], a[120:127], 0// 000000003FCC: D3AD009C 1A02F118
	v_mul_f32_dpp v58, v37, v25 row_newbcast:2 row_mask:0xf bank_mask:0xf// 000000003FD4: 0A7432FA FF015225
	v_mov_b32_e32 v59, v58                                     // 000000003FDC: 7E76033A
	v_pk_fma_f32 v[64:65], v[128:129], v[58:59], v[64:65]      // 000000003FE0: D3B04040 1D027580
	v_pk_fma_f32 v[66:67], v[130:131], v[58:59], v[66:67]      // 000000003FE8: D3B04042 1D0A7582
	v_pk_fma_f32 v[80:81], v[144:145], v[58:59], v[80:81]      // 000000003FF0: D3B04050 1D427590
	v_pk_fma_f32 v[82:83], v[146:147], v[58:59], v[82:83]      // 000000003FF8: D3B04052 1D4A7592
	v_mul_f32_dpp v58, v37, v26 row_newbcast:2 row_mask:0xf bank_mask:0xf// 000000004000: 0A7434FA FF015225
	v_mov_b32_e32 v59, v58                                     // 000000004008: 7E76033A
	v_pk_fma_f32 v[68:69], v[132:133], v[58:59], v[68:69]      // 00000000400C: D3B04044 1D127584
	v_pk_fma_f32 v[70:71], v[134:135], v[58:59], v[70:71]      // 000000004014: D3B04046 1D1A7586
	v_pk_fma_f32 v[84:85], v[148:149], v[58:59], v[84:85]      // 00000000401C: D3B04054 1D527594
	v_pk_fma_f32 v[86:87], v[150:151], v[58:59], v[86:87]      // 000000004024: D3B04056 1D5A7596
	v_mul_f32_dpp v58, v37, v27 row_newbcast:2 row_mask:0xf bank_mask:0xf// 00000000402C: 0A7436FA FF015225
	v_mov_b32_e32 v59, v58                                     // 000000004034: 7E76033A
	v_pk_fma_f32 v[72:73], v[136:137], v[58:59], v[72:73]      // 000000004038: D3B04048 1D227588
	v_pk_fma_f32 v[74:75], v[138:139], v[58:59], v[74:75]      // 000000004040: D3B0404A 1D2A758A
	v_pk_fma_f32 v[88:89], v[152:153], v[58:59], v[88:89]      // 000000004048: D3B04058 1D627598
	v_pk_fma_f32 v[90:91], v[154:155], v[58:59], v[90:91]      // 000000004050: D3B0405A 1D6A759A
	v_mul_f32_dpp v58, v37, v28 row_newbcast:2 row_mask:0xf bank_mask:0xf// 000000004058: 0A7438FA FF015225
	v_mov_b32_e32 v59, v58                                     // 000000004060: 7E76033A
	v_pk_fma_f32 v[76:77], v[140:141], v[58:59], v[76:77]      // 000000004064: D3B0404C 1D32758C
	v_pk_fma_f32 v[78:79], v[142:143], v[58:59], v[78:79]      // 00000000406C: D3B0404E 1D3A758E
	v_pk_fma_f32 v[92:93], v[156:157], v[58:59], v[92:93]      // 000000004074: D3B0405C 1D72759C
	v_pk_fma_f32 v[94:95], v[158:159], v[58:59], v[94:95]      // 00000000407C: D3B0405E 1D7A759E
	s_add_u32 s56, 0x100, s76                                  // 000000004084: 80384CFF 00000100
	s_cmp_lt_u32 s56, s77                                      // 00000000408C: BF0A4D38
	s_cselect_b32 s4, s4, 0                                    // 000000004090: 85048004
	s_add_u32 s32, s4, s32                                     // 000000004094: 80202004
	s_addc_u32 s33, 0, s33                                     // 000000004098: 82212180
	s_waitcnt vmcnt(6)                                         // 00000000409C: BF8C0F76
	s_barrier                                                  // 0000000040A0: BF8A0000
	v_mfma_f32_16x16x128_f8f6f4 v[128:131], a[32:39], a[64:71], 0// 0000000040A4: D3AD0080 1A028120
	v_mfma_f32_16x16x128_f8f6f4 v[132:135], a[32:39], a[80:87], 0// 0000000040AC: D3AD0084 1A02A120
	buffer_load_dword v37, v17, s[32:35], 0 offen              // 0000000040B4: E0501000 80082511
	buffer_load_dwordx4 a[0:3], v47, s[24:27], 0 offen         // 0000000040BC: E05C1000 8086002F
	buffer_load_dwordx4 a[4:7], v47, s[24:27], 0 offen offset:1024// 0000000040C4: E05C1400 8086042F
	v_mfma_f32_16x16x128_f8f6f4 v[136:139], a[32:39], a[96:103], 0// 0000000040CC: D3AD0088 1A02C120
	v_mfma_f32_16x16x128_f8f6f4 v[140:143], a[32:39], a[112:119], 0// 0000000040D4: D3AD008C 1A02E120
	buffer_load_dwordx4 a[8:11], v48, s[24:27], 0 offen        // 0000000040DC: E05C1000 80860830
	buffer_load_dwordx4 a[12:15], v48, s[24:27], 0 offen offset:1024// 0000000040E4: E05C1400 80860C30
	s_waitcnt vmcnt(9)                                         // 0000000040EC: BF8C0F79
	v_mfma_f32_16x16x128_f8f6f4 v[144:147], a[40:47], a[64:71], 0// 0000000040F0: D3AD0090 1A028128
	v_mfma_f32_16x16x128_f8f6f4 v[148:151], a[40:47], a[80:87], 0// 0000000040F8: D3AD0094 1A02A128
	buffer_load_dwordx4 a[16:19], v47, s[24:27], 0 offen offset:2048// 000000004100: E05C1800 8086102F
	buffer_load_dwordx4 a[20:23], v47, s[24:27], 0 offen offset:3072// 000000004108: E05C1C00 8086142F
	v_mfma_f32_16x16x128_f8f6f4 v[152:155], a[40:47], a[96:103], 0// 000000004110: D3AD0098 1A02C128
	v_mfma_f32_16x16x128_f8f6f4 v[156:159], a[40:47], a[112:119], 0// 000000004118: D3AD009C 1A02E128
	buffer_load_dwordx4 a[24:27], v48, s[24:27], 0 offen offset:2048// 000000004120: E05C1800 80861830
	buffer_load_dwordx4 a[28:31], v48, s[24:27], 0 offen offset:3072// 000000004128: E05C1C00 80861C30
	v_mul_f32_dpp v58, v38, v21 row_newbcast:0 row_mask:0xf bank_mask:0xf// 000000004130: 0A742AFA FF015026
	v_mov_b32_e32 v59, v58                                     // 000000004138: 7E76033A
	v_pk_fma_f32 v[96:97], v[128:129], v[58:59], v[96:97]      // 00000000413C: D3B04060 1D827580
	v_pk_fma_f32 v[98:99], v[130:131], v[58:59], v[98:99]      // 000000004144: D3B04062 1D8A7582
	v_pk_fma_f32 v[112:113], v[144:145], v[58:59], v[112:113]  // 00000000414C: D3B04070 1DC27590
	v_pk_fma_f32 v[114:115], v[146:147], v[58:59], v[114:115]  // 000000004154: D3B04072 1DCA7592
	v_mul_f32_dpp v58, v38, v22 row_newbcast:0 row_mask:0xf bank_mask:0xf// 00000000415C: 0A742CFA FF015026
	v_mov_b32_e32 v59, v58                                     // 000000004164: 7E76033A
	v_pk_fma_f32 v[100:101], v[132:133], v[58:59], v[100:101]  // 000000004168: D3B04064 1D927584
	v_pk_fma_f32 v[102:103], v[134:135], v[58:59], v[102:103]  // 000000004170: D3B04066 1D9A7586
	v_pk_fma_f32 v[116:117], v[148:149], v[58:59], v[116:117]  // 000000004178: D3B04074 1DD27594
	v_pk_fma_f32 v[118:119], v[150:151], v[58:59], v[118:119]  // 000000004180: D3B04076 1DDA7596
	v_mul_f32_dpp v58, v38, v23 row_newbcast:0 row_mask:0xf bank_mask:0xf// 000000004188: 0A742EFA FF015026
	v_mov_b32_e32 v59, v58                                     // 000000004190: 7E76033A
	v_pk_fma_f32 v[104:105], v[136:137], v[58:59], v[104:105]  // 000000004194: D3B04068 1DA27588
	v_pk_fma_f32 v[106:107], v[138:139], v[58:59], v[106:107]  // 00000000419C: D3B0406A 1DAA758A
	v_pk_fma_f32 v[120:121], v[152:153], v[58:59], v[120:121]  // 0000000041A4: D3B04078 1DE27598
	v_pk_fma_f32 v[122:123], v[154:155], v[58:59], v[122:123]  // 0000000041AC: D3B0407A 1DEA759A
	v_mul_f32_dpp v58, v38, v24 row_newbcast:0 row_mask:0xf bank_mask:0xf// 0000000041B4: 0A7430FA FF015026
	v_mov_b32_e32 v59, v58                                     // 0000000041BC: 7E76033A
	v_pk_fma_f32 v[108:109], v[140:141], v[58:59], v[108:109]  // 0000000041C0: D3B0406C 1DB2758C
	v_pk_fma_f32 v[110:111], v[142:143], v[58:59], v[110:111]  // 0000000041C8: D3B0406E 1DBA758E
	v_pk_fma_f32 v[124:125], v[156:157], v[58:59], v[124:125]  // 0000000041D0: D3B0407C 1DF2759C
	v_pk_fma_f32 v[126:127], v[158:159], v[58:59], v[126:127]  // 0000000041D8: D3B0407E 1DFA759E
	s_waitcnt vmcnt(11)                                        // 0000000041E0: BF8C0F7B
	v_mfma_f32_16x16x128_f8f6f4 v[128:131], a[48:55], a[72:79], 0// 0000000041E4: D3AD0080 1A029130
	ds_read_b128 a[128:131], v2 offset:9472                    // 0000000041EC: DBFE2500 80000002
	ds_read_b128 a[132:135], v2 offset:9536                    // 0000000041F4: DBFE2540 84000002
	ds_read_b128 a[136:139], v2 offset:13696                   // 0000000041FC: DBFE3580 88000002
	ds_read_b128 a[140:143], v2 offset:13760                   // 000000004204: DBFE35C0 8C000002
	ds_read_b32 v29, v3 offset:17920                           // 00000000420C: D86C4600 1D000003
	ds_read_b32 v30, v3 offset:18176                           // 000000004214: D86C4700 1E000003
	v_mfma_f32_16x16x128_f8f6f4 v[132:135], a[48:55], a[88:95], 0// 00000000421C: D3AD0084 1A02B130
	v_mfma_f32_16x16x128_f8f6f4 v[136:139], a[48:55], a[104:111], 0// 000000004224: D3AD0088 1A02D130
	ds_read_b128 a[144:147], v2 offset:9984                    // 00000000422C: DBFE2700 90000002
	ds_read_b128 a[148:151], v2 offset:10048                   // 000000004234: DBFE2740 94000002
	ds_read_b128 a[152:155], v2 offset:14208                   // 00000000423C: DBFE3780 98000002
	ds_read_b128 a[156:159], v2 offset:14272                   // 000000004244: DBFE37C0 9C000002
	ds_read_b32 v31, v3 offset:36864                           // 00000000424C: D86C9000 1F000003
	ds_read_b32 v32, v3 offset:37120                           // 000000004254: D86C9100 20000003
	v_mfma_f32_16x16x128_f8f6f4 v[140:143], a[48:55], a[120:127], 0// 00000000425C: D3AD008C 1A02F130
	s_waitcnt vmcnt(9)                                         // 000000004264: BF8C0F79
	v_mfma_f32_16x16x128_f8f6f4 v[144:147], a[56:63], a[72:79], 0// 000000004268: D3AD0090 1A029138
	ds_read_b128 a[160:163], v2 offset:28416                   // 000000004270: DBFE6F00 A0000002
	ds_read_b128 a[164:167], v2 offset:28480                   // 000000004278: DBFE6F40 A4000002
	ds_read_b128 a[168:171], v2 offset:32640                   // 000000004280: DBFE7F80 A8000002
	ds_read_b128 a[172:175], v2 offset:32704                   // 000000004288: DBFE7FC0 AC000002
	ds_read_b32 v33, v3 offset:18432                           // 000000004290: D86C4800 21000003
	ds_read_b32 v34, v3 offset:18688                           // 000000004298: D86C4900 22000003
	v_mfma_f32_16x16x128_f8f6f4 v[148:151], a[56:63], a[88:95], 0// 0000000042A0: D3AD0094 1A02B138
	v_mfma_f32_16x16x128_f8f6f4 v[152:155], a[56:63], a[104:111], 0// 0000000042A8: D3AD0098 1A02D138
	ds_read_b128 a[176:179], v2 offset:28928                   // 0000000042B0: DBFE7100 B0000002
	ds_read_b128 a[180:183], v2 offset:28992                   // 0000000042B8: DBFE7140 B4000002
	ds_read_b128 a[184:187], v2 offset:33152                   // 0000000042C0: DBFE8180 B8000002
	ds_read_b128 a[188:191], v2 offset:33216                   // 0000000042C8: DBFE81C0 BC000002
	ds_read_b32 v35, v3 offset:37376                           // 0000000042D0: D86C9200 23000003
	ds_read_b32 v36, v3 offset:37632                           // 0000000042D8: D86C9300 24000003
	v_mfma_f32_16x16x128_f8f6f4 v[156:159], a[56:63], a[120:127], 0// 0000000042E0: D3AD009C 1A02F138
	v_mul_f32_dpp v58, v38, v25 row_newbcast:2 row_mask:0xf bank_mask:0xf// 0000000042E8: 0A7432FA FF015226
	v_mov_b32_e32 v59, v58                                     // 0000000042F0: 7E76033A
	v_pk_fma_f32 v[96:97], v[128:129], v[58:59], v[96:97]      // 0000000042F4: D3B04060 1D827580
	v_pk_fma_f32 v[98:99], v[130:131], v[58:59], v[98:99]      // 0000000042FC: D3B04062 1D8A7582
	v_pk_fma_f32 v[112:113], v[144:145], v[58:59], v[112:113]  // 000000004304: D3B04070 1DC27590
	v_pk_fma_f32 v[114:115], v[146:147], v[58:59], v[114:115]  // 00000000430C: D3B04072 1DCA7592
	v_mul_f32_dpp v58, v38, v26 row_newbcast:2 row_mask:0xf bank_mask:0xf// 000000004314: 0A7434FA FF015226
	v_mov_b32_e32 v59, v58                                     // 00000000431C: 7E76033A
	v_pk_fma_f32 v[100:101], v[132:133], v[58:59], v[100:101]  // 000000004320: D3B04064 1D927584
	v_pk_fma_f32 v[102:103], v[134:135], v[58:59], v[102:103]  // 000000004328: D3B04066 1D9A7586
	v_pk_fma_f32 v[116:117], v[148:149], v[58:59], v[116:117]  // 000000004330: D3B04074 1DD27594
	v_pk_fma_f32 v[118:119], v[150:151], v[58:59], v[118:119]  // 000000004338: D3B04076 1DDA7596
	v_mul_f32_dpp v58, v38, v27 row_newbcast:2 row_mask:0xf bank_mask:0xf// 000000004340: 0A7436FA FF015226
	v_mov_b32_e32 v59, v58                                     // 000000004348: 7E76033A
	v_pk_fma_f32 v[104:105], v[136:137], v[58:59], v[104:105]  // 00000000434C: D3B04068 1DA27588
	v_pk_fma_f32 v[106:107], v[138:139], v[58:59], v[106:107]  // 000000004354: D3B0406A 1DAA758A
	v_pk_fma_f32 v[120:121], v[152:153], v[58:59], v[120:121]  // 00000000435C: D3B04078 1DE27598
	v_pk_fma_f32 v[122:123], v[154:155], v[58:59], v[122:123]  // 000000004364: D3B0407A 1DEA759A
	v_mul_f32_dpp v58, v38, v28 row_newbcast:2 row_mask:0xf bank_mask:0xf// 00000000436C: 0A7438FA FF015226
	v_mov_b32_e32 v59, v58                                     // 000000004374: 7E76033A
	v_pk_fma_f32 v[108:109], v[140:141], v[58:59], v[108:109]  // 000000004378: D3B0406C 1DB2758C
	v_pk_fma_f32 v[110:111], v[142:143], v[58:59], v[110:111]  // 000000004380: D3B0406E 1DBA758E
	v_pk_fma_f32 v[124:125], v[156:157], v[58:59], v[124:125]  // 000000004388: D3B0407C 1DF2759C
	v_pk_fma_f32 v[126:127], v[158:159], v[58:59], v[126:127]  // 000000004390: D3B0407E 1DFA759E
	s_add_u32 s56, 0x200, s76                                  // 000000004398: 80384CFF 00000200
	s_cmp_lt_u32 s56, s77                                      // 0000000043A0: BF0A4D38
	s_cselect_b32 s53, s53, 0                                  // 0000000043A4: 85358035
	s_cselect_b32 s3, s3, 0                                    // 0000000043A8: 85038003
	s_add_u32 s56, 0x200, s76                                  // 0000000043AC: 80384CFF 00000200
	s_cmp_lt_u32 s56, s77                                      // 0000000043B4: BF0A4D38
	s_cselect_b32 s54, s54, 0                                  // 0000000043B8: 85368036
	s_add_u32 s20, s53, s20                                    // 0000000043BC: 80141435
	s_addc_u32 s21, 0, s21                                     // 0000000043C0: 82151580
	s_add_u32 s28, s3, s28                                     // 0000000043C4: 801C1C03
	s_addc_u32 s29, 0, s29                                     // 0000000043C8: 821D1D80
	s_add_u32 s24, s54, s24                                    // 0000000043CC: 80181836
	s_addc_u32 s25, 0, s25                                     // 0000000043D0: 82191980
	s_add_u32 s96, s94, s96                                    // 0000000043D4: 8060605E
	s_addc_u32 s97, 0, s97                                     // 0000000043D8: 82616180
	s_addk_i32 s76, 0x100                                      // 0000000043DC: B74C0100
	s_cmp_lt_i32 s76, s77                                      // 0000000043E0: BF044D4C
	s_cbranch_scc0 label_06FA                                  // 0000000043E4: BF840180
	s_waitcnt vmcnt(6) lgkmcnt(0)                              // 0000000043E8: BF8C0076
	s_barrier                                                  // 0000000043EC: BF8A0000
	v_mfma_f32_16x16x128_f8f6f4 v[128:131], a[0:7], a[128:135], 0// 0000000043F0: D3AD0080 1A030100
	v_mfma_f32_16x16x128_f8f6f4 v[132:135], a[0:7], a[144:151], 0// 0000000043F8: D3AD0084 1A032100
	buffer_load_dwordx4 v43, s[20:23], 0 offen lds             // 000000004400: E05D1000 8005002B
	s_add_u32 m0, 0x1080, s48                                  // 000000004408: 807C30FF 00001080
	buffer_load_dwordx4 v44, s[20:23], 0 offen lds             // 000000004410: E05D1000 8005002C
	s_add_u32 m0, 0, s50                                       // 000000004418: 807C3280
	buffer_load_dwordx4 v45, s[20:23], 0 offen lds             // 00000000441C: E05D1000 8005002D
	s_add_u32 m0, 0x1080, s50                                  // 000000004424: 807C32FF 00001080
	buffer_load_dwordx4 v46, s[20:23], 0 offen lds             // 00000000442C: E05D1000 8005002E
	s_add_u32 m0, 0x1080, s48                                  // 000000004434: 807C30FF 00001080
	s_add_u32 m0, m0, s72                                      // 00000000443C: 807C487C
	buffer_load_dword v9, s[28:31], 0 offen lds                // 000000004440: E0511000 80070009
	s_add_u32 m0, m0, 0x4a00                                   // 000000004448: 807CFF7C 00004A00
	buffer_load_dword v11, s[28:31], 0 offen lds               // 000000004450: E0511000 8007000B
	s_add_u32 m0, 0, s49                                       // 000000004458: 807C3180
	buffer_load_dword v38, v19, s[32:35], 0 offen              // 00000000445C: E0501000 80082613
	buffer_load_dwordx4 a[32:35], v47, s[96:99], 0 offen       // 000000004464: E05C1000 8098202F
	buffer_load_dwordx4 a[36:39], v47, s[96:99], 0 offen offset:1024// 00000000446C: E05C1400 8098242F
	v_mfma_f32_16x16x128_f8f6f4 v[136:139], a[0:7], a[160:167], 0// 000000004474: D3AD0088 1A034100
	v_mfma_f32_16x16x128_f8f6f4 v[140:143], a[0:7], a[176:183], 0// 00000000447C: D3AD008C 1A036100
	buffer_load_dwordx4 a[40:43], v48, s[96:99], 0 offen       // 000000004484: E05C1000 80982830
	buffer_load_dwordx4 a[44:47], v48, s[96:99], 0 offen offset:1024// 00000000448C: E05C1400 80982C30
	s_waitcnt vmcnt(15)                                        // 000000004494: BF8C0F7F
	v_mfma_f32_16x16x128_f8f6f4 v[144:147], a[8:15], a[128:135], 0// 000000004498: D3AD0090 1A030108
	v_mfma_f32_16x16x128_f8f6f4 v[148:151], a[8:15], a[144:151], 0// 0000000044A0: D3AD0094 1A032108
	buffer_load_dwordx4 a[48:51], v47, s[96:99], 0 offen offset:2048// 0000000044A8: E05C1800 8098302F
	buffer_load_dwordx4 a[52:55], v47, s[96:99], 0 offen offset:3072// 0000000044B0: E05C1C00 8098342F
	v_mfma_f32_16x16x128_f8f6f4 v[152:155], a[8:15], a[160:167], 0// 0000000044B8: D3AD0098 1A034108
	v_mfma_f32_16x16x128_f8f6f4 v[156:159], a[8:15], a[176:183], 0// 0000000044C0: D3AD009C 1A036108
	buffer_load_dwordx4 a[56:59], v48, s[96:99], 0 offen offset:2048// 0000000044C8: E05C1800 80983830
	buffer_load_dwordx4 a[60:63], v48, s[96:99], 0 offen offset:3072// 0000000044D0: E05C1C00 80983C30
	v_mul_f32_dpp v58, v37, v29 row_newbcast:0 row_mask:0xf bank_mask:0xf// 0000000044D8: 0A743AFA FF015025
	v_mov_b32_e32 v59, v58                                     // 0000000044E0: 7E76033A
	v_pk_fma_f32 v[64:65], v[128:129], v[58:59], v[64:65]      // 0000000044E4: D3B04040 1D027580
	v_pk_fma_f32 v[66:67], v[130:131], v[58:59], v[66:67]      // 0000000044EC: D3B04042 1D0A7582
	v_pk_fma_f32 v[80:81], v[144:145], v[58:59], v[80:81]      // 0000000044F4: D3B04050 1D427590
	v_pk_fma_f32 v[82:83], v[146:147], v[58:59], v[82:83]      // 0000000044FC: D3B04052 1D4A7592
	v_mul_f32_dpp v58, v37, v30 row_newbcast:0 row_mask:0xf bank_mask:0xf// 000000004504: 0A743CFA FF015025
	v_mov_b32_e32 v59, v58                                     // 00000000450C: 7E76033A
	v_pk_fma_f32 v[68:69], v[132:133], v[58:59], v[68:69]      // 000000004510: D3B04044 1D127584
	v_pk_fma_f32 v[70:71], v[134:135], v[58:59], v[70:71]      // 000000004518: D3B04046 1D1A7586
	v_pk_fma_f32 v[84:85], v[148:149], v[58:59], v[84:85]      // 000000004520: D3B04054 1D527594
	v_pk_fma_f32 v[86:87], v[150:151], v[58:59], v[86:87]      // 000000004528: D3B04056 1D5A7596
	v_mul_f32_dpp v58, v37, v31 row_newbcast:0 row_mask:0xf bank_mask:0xf// 000000004530: 0A743EFA FF015025
	v_mov_b32_e32 v59, v58                                     // 000000004538: 7E76033A
	v_pk_fma_f32 v[72:73], v[136:137], v[58:59], v[72:73]      // 00000000453C: D3B04048 1D227588
	v_pk_fma_f32 v[74:75], v[138:139], v[58:59], v[74:75]      // 000000004544: D3B0404A 1D2A758A
	v_pk_fma_f32 v[88:89], v[152:153], v[58:59], v[88:89]      // 00000000454C: D3B04058 1D627598
	v_pk_fma_f32 v[90:91], v[154:155], v[58:59], v[90:91]      // 000000004554: D3B0405A 1D6A759A
	v_mul_f32_dpp v58, v37, v32 row_newbcast:0 row_mask:0xf bank_mask:0xf// 00000000455C: 0A7440FA FF015025
	v_mov_b32_e32 v59, v58                                     // 000000004564: 7E76033A
	v_pk_fma_f32 v[76:77], v[140:141], v[58:59], v[76:77]      // 000000004568: D3B0404C 1D32758C
	v_pk_fma_f32 v[78:79], v[142:143], v[58:59], v[78:79]      // 000000004570: D3B0404E 1D3A758E
	v_pk_fma_f32 v[92:93], v[156:157], v[58:59], v[92:93]      // 000000004578: D3B0405C 1D72759C
	v_pk_fma_f32 v[94:95], v[158:159], v[58:59], v[94:95]      // 000000004580: D3B0405E 1D7A759E
	s_waitcnt vmcnt(17)                                        // 000000004588: BF8C4F71
	v_mfma_f32_16x16x128_f8f6f4 v[128:131], a[16:23], a[136:143], 0// 00000000458C: D3AD0080 1A031110
	v_mfma_f32_16x16x128_f8f6f4 v[132:135], a[16:23], a[152:159], 0// 000000004594: D3AD0084 1A033110
	v_mfma_f32_16x16x128_f8f6f4 v[136:139], a[16:23], a[168:175], 0// 00000000459C: D3AD0088 1A035110
	v_mfma_f32_16x16x128_f8f6f4 v[140:143], a[16:23], a[184:191], 0// 0000000045A4: D3AD008C 1A037110
	s_waitcnt vmcnt(15)                                        // 0000000045AC: BF8C0F7F
	v_mfma_f32_16x16x128_f8f6f4 v[144:147], a[24:31], a[136:143], 0// 0000000045B0: D3AD0090 1A031118
	v_mfma_f32_16x16x128_f8f6f4 v[148:151], a[24:31], a[152:159], 0// 0000000045B8: D3AD0094 1A033118
	v_mfma_f32_16x16x128_f8f6f4 v[152:155], a[24:31], a[168:175], 0// 0000000045C0: D3AD0098 1A035118
	v_mfma_f32_16x16x128_f8f6f4 v[156:159], a[24:31], a[184:191], 0// 0000000045C8: D3AD009C 1A037118
	v_mul_f32_dpp v58, v37, v33 row_newbcast:2 row_mask:0xf bank_mask:0xf// 0000000045D0: 0A7442FA FF015225
	v_mov_b32_e32 v59, v58                                     // 0000000045D8: 7E76033A
	v_pk_fma_f32 v[64:65], v[128:129], v[58:59], v[64:65]      // 0000000045DC: D3B04040 1D027580
	v_pk_fma_f32 v[66:67], v[130:131], v[58:59], v[66:67]      // 0000000045E4: D3B04042 1D0A7582
	v_pk_fma_f32 v[80:81], v[144:145], v[58:59], v[80:81]      // 0000000045EC: D3B04050 1D427590
	v_pk_fma_f32 v[82:83], v[146:147], v[58:59], v[82:83]      // 0000000045F4: D3B04052 1D4A7592
	v_mul_f32_dpp v58, v37, v34 row_newbcast:2 row_mask:0xf bank_mask:0xf// 0000000045FC: 0A7444FA FF015225
	v_mov_b32_e32 v59, v58                                     // 000000004604: 7E76033A
	v_pk_fma_f32 v[68:69], v[132:133], v[58:59], v[68:69]      // 000000004608: D3B04044 1D127584
	v_pk_fma_f32 v[70:71], v[134:135], v[58:59], v[70:71]      // 000000004610: D3B04046 1D1A7586
	v_pk_fma_f32 v[84:85], v[148:149], v[58:59], v[84:85]      // 000000004618: D3B04054 1D527594
	v_pk_fma_f32 v[86:87], v[150:151], v[58:59], v[86:87]      // 000000004620: D3B04056 1D5A7596
	v_mul_f32_dpp v58, v37, v35 row_newbcast:2 row_mask:0xf bank_mask:0xf// 000000004628: 0A7446FA FF015225
	v_mov_b32_e32 v59, v58                                     // 000000004630: 7E76033A
	v_pk_fma_f32 v[72:73], v[136:137], v[58:59], v[72:73]      // 000000004634: D3B04048 1D227588
	v_pk_fma_f32 v[74:75], v[138:139], v[58:59], v[74:75]      // 00000000463C: D3B0404A 1D2A758A
	v_pk_fma_f32 v[88:89], v[152:153], v[58:59], v[88:89]      // 000000004644: D3B04058 1D627598
	v_pk_fma_f32 v[90:91], v[154:155], v[58:59], v[90:91]      // 00000000464C: D3B0405A 1D6A759A
	v_mul_f32_dpp v58, v37, v36 row_newbcast:2 row_mask:0xf bank_mask:0xf// 000000004654: 0A7448FA FF015225
	v_mov_b32_e32 v59, v58                                     // 00000000465C: 7E76033A
	v_pk_fma_f32 v[76:77], v[140:141], v[58:59], v[76:77]      // 000000004660: D3B0404C 1D32758C
	v_pk_fma_f32 v[78:79], v[142:143], v[58:59], v[78:79]      // 000000004668: D3B0404E 1D3A758E
	v_pk_fma_f32 v[92:93], v[156:157], v[58:59], v[92:93]      // 000000004670: D3B0405C 1D72759C
	v_pk_fma_f32 v[94:95], v[158:159], v[58:59], v[94:95]      // 000000004678: D3B0405E 1D7A759E
	s_add_u32 s56, 0x100, s76                                  // 000000004680: 80384CFF 00000100
	s_cmp_lt_u32 s56, s77                                      // 000000004688: BF0A4D38
	s_cselect_b32 s4, s4, 0                                    // 00000000468C: 85048004
	s_add_u32 s32, s4, s32                                     // 000000004690: 80202004
	s_addc_u32 s33, 0, s33                                     // 000000004694: 82212180
	s_waitcnt vmcnt(6)                                         // 000000004698: BF8C0F76
	s_barrier                                                  // 00000000469C: BF8A0000
	v_mfma_f32_16x16x128_f8f6f4 v[128:131], a[32:39], a[128:135], 0// 0000000046A0: D3AD0080 1A030120
	v_mfma_f32_16x16x128_f8f6f4 v[132:135], a[32:39], a[144:151], 0// 0000000046A8: D3AD0084 1A032120
	buffer_load_dword v37, v17, s[32:35], 0 offen              // 0000000046B0: E0501000 80082511
	buffer_load_dwordx4 a[0:3], v47, s[24:27], 0 offen         // 0000000046B8: E05C1000 8086002F
	buffer_load_dwordx4 a[4:7], v47, s[24:27], 0 offen offset:1024// 0000000046C0: E05C1400 8086042F
	v_mfma_f32_16x16x128_f8f6f4 v[136:139], a[32:39], a[160:167], 0// 0000000046C8: D3AD0088 1A034120
	v_mfma_f32_16x16x128_f8f6f4 v[140:143], a[32:39], a[176:183], 0// 0000000046D0: D3AD008C 1A036120
	buffer_load_dwordx4 a[8:11], v48, s[24:27], 0 offen        // 0000000046D8: E05C1000 80860830
	buffer_load_dwordx4 a[12:15], v48, s[24:27], 0 offen offset:1024// 0000000046E0: E05C1400 80860C30
	s_waitcnt vmcnt(9)                                         // 0000000046E8: BF8C0F79
	v_mfma_f32_16x16x128_f8f6f4 v[144:147], a[40:47], a[128:135], 0// 0000000046EC: D3AD0090 1A030128
	v_mfma_f32_16x16x128_f8f6f4 v[148:151], a[40:47], a[144:151], 0// 0000000046F4: D3AD0094 1A032128
	buffer_load_dwordx4 a[16:19], v47, s[24:27], 0 offen offset:2048// 0000000046FC: E05C1800 8086102F
	buffer_load_dwordx4 a[20:23], v47, s[24:27], 0 offen offset:3072// 000000004704: E05C1C00 8086142F
	v_mfma_f32_16x16x128_f8f6f4 v[152:155], a[40:47], a[160:167], 0// 00000000470C: D3AD0098 1A034128
	v_mfma_f32_16x16x128_f8f6f4 v[156:159], a[40:47], a[176:183], 0// 000000004714: D3AD009C 1A036128
	buffer_load_dwordx4 a[24:27], v48, s[24:27], 0 offen offset:2048// 00000000471C: E05C1800 80861830
	buffer_load_dwordx4 a[28:31], v48, s[24:27], 0 offen offset:3072// 000000004724: E05C1C00 80861C30
	v_mul_f32_dpp v58, v38, v29 row_newbcast:0 row_mask:0xf bank_mask:0xf// 00000000472C: 0A743AFA FF015026
	v_mov_b32_e32 v59, v58                                     // 000000004734: 7E76033A
	v_pk_fma_f32 v[96:97], v[128:129], v[58:59], v[96:97]      // 000000004738: D3B04060 1D827580
	v_pk_fma_f32 v[98:99], v[130:131], v[58:59], v[98:99]      // 000000004740: D3B04062 1D8A7582
	v_pk_fma_f32 v[112:113], v[144:145], v[58:59], v[112:113]  // 000000004748: D3B04070 1DC27590
	v_pk_fma_f32 v[114:115], v[146:147], v[58:59], v[114:115]  // 000000004750: D3B04072 1DCA7592
	v_mul_f32_dpp v58, v38, v30 row_newbcast:0 row_mask:0xf bank_mask:0xf// 000000004758: 0A743CFA FF015026
	v_mov_b32_e32 v59, v58                                     // 000000004760: 7E76033A
	v_pk_fma_f32 v[100:101], v[132:133], v[58:59], v[100:101]  // 000000004764: D3B04064 1D927584
	v_pk_fma_f32 v[102:103], v[134:135], v[58:59], v[102:103]  // 00000000476C: D3B04066 1D9A7586
	v_pk_fma_f32 v[116:117], v[148:149], v[58:59], v[116:117]  // 000000004774: D3B04074 1DD27594
	v_pk_fma_f32 v[118:119], v[150:151], v[58:59], v[118:119]  // 00000000477C: D3B04076 1DDA7596
	v_mul_f32_dpp v58, v38, v31 row_newbcast:0 row_mask:0xf bank_mask:0xf// 000000004784: 0A743EFA FF015026
	v_mov_b32_e32 v59, v58                                     // 00000000478C: 7E76033A
	v_pk_fma_f32 v[104:105], v[136:137], v[58:59], v[104:105]  // 000000004790: D3B04068 1DA27588
	v_pk_fma_f32 v[106:107], v[138:139], v[58:59], v[106:107]  // 000000004798: D3B0406A 1DAA758A
	v_pk_fma_f32 v[120:121], v[152:153], v[58:59], v[120:121]  // 0000000047A0: D3B04078 1DE27598
	v_pk_fma_f32 v[122:123], v[154:155], v[58:59], v[122:123]  // 0000000047A8: D3B0407A 1DEA759A
	v_mul_f32_dpp v58, v38, v32 row_newbcast:0 row_mask:0xf bank_mask:0xf// 0000000047B0: 0A7440FA FF015026
	v_mov_b32_e32 v59, v58                                     // 0000000047B8: 7E76033A
	v_pk_fma_f32 v[108:109], v[140:141], v[58:59], v[108:109]  // 0000000047BC: D3B0406C 1DB2758C
	v_pk_fma_f32 v[110:111], v[142:143], v[58:59], v[110:111]  // 0000000047C4: D3B0406E 1DBA758E
	v_pk_fma_f32 v[124:125], v[156:157], v[58:59], v[124:125]  // 0000000047CC: D3B0407C 1DF2759C
	v_pk_fma_f32 v[126:127], v[158:159], v[58:59], v[126:127]  // 0000000047D4: D3B0407E 1DFA759E
	s_waitcnt vmcnt(11)                                        // 0000000047DC: BF8C0F7B
	v_mfma_f32_16x16x128_f8f6f4 v[128:131], a[48:55], a[136:143], 0// 0000000047E0: D3AD0080 1A031130
	ds_read_b128 a[64:67], v2                                  // 0000000047E8: DBFE0000 40000002
	ds_read_b128 a[68:71], v2 offset:64                        // 0000000047F0: DBFE0040 44000002
	ds_read_b128 a[72:75], v2 offset:4224                      // 0000000047F8: DBFE1080 48000002
	ds_read_b128 a[76:79], v2 offset:4288                      // 000000004800: DBFE10C0 4C000002
	ds_read_b32 v21, v3 offset:8448                            // 000000004808: D86C2100 15000003
	ds_read_b32 v22, v3 offset:8704                            // 000000004810: D86C2200 16000003
	v_mfma_f32_16x16x128_f8f6f4 v[132:135], a[48:55], a[152:159], 0// 000000004818: D3AD0084 1A033130
	v_mfma_f32_16x16x128_f8f6f4 v[136:139], a[48:55], a[168:175], 0// 000000004820: D3AD0088 1A035130
	ds_read_b128 a[80:83], v2 offset:512                       // 000000004828: DBFE0200 50000002
	ds_read_b128 a[84:87], v2 offset:576                       // 000000004830: DBFE0240 54000002
	ds_read_b128 a[88:91], v2 offset:4736                      // 000000004838: DBFE1280 58000002
	ds_read_b128 a[92:95], v2 offset:4800                      // 000000004840: DBFE12C0 5C000002
	ds_read_b32 v23, v3 offset:27392                           // 000000004848: D86C6B00 17000003
	ds_read_b32 v24, v3 offset:27648                           // 000000004850: D86C6C00 18000003
	v_mfma_f32_16x16x128_f8f6f4 v[140:143], a[48:55], a[184:191], 0// 000000004858: D3AD008C 1A037130
	s_waitcnt vmcnt(9)                                         // 000000004860: BF8C0F79
	v_mfma_f32_16x16x128_f8f6f4 v[144:147], a[56:63], a[136:143], 0// 000000004864: D3AD0090 1A031138
	ds_read_b128 a[96:99], v2 offset:18944                     // 00000000486C: DBFE4A00 60000002
	ds_read_b128 a[100:103], v2 offset:19008                   // 000000004874: DBFE4A40 64000002
	ds_read_b128 a[104:107], v2 offset:23168                   // 00000000487C: DBFE5A80 68000002
	ds_read_b128 a[108:111], v2 offset:23232                   // 000000004884: DBFE5AC0 6C000002
	ds_read_b32 v25, v3 offset:8960                            // 00000000488C: D86C2300 19000003
	ds_read_b32 v26, v3 offset:9216                            // 000000004894: D86C2400 1A000003
	v_mfma_f32_16x16x128_f8f6f4 v[148:151], a[56:63], a[152:159], 0// 00000000489C: D3AD0094 1A033138
	v_mfma_f32_16x16x128_f8f6f4 v[152:155], a[56:63], a[168:175], 0// 0000000048A4: D3AD0098 1A035138
	ds_read_b128 a[112:115], v2 offset:19456                   // 0000000048AC: DBFE4C00 70000002
	ds_read_b128 a[116:119], v2 offset:19520                   // 0000000048B4: DBFE4C40 74000002
	ds_read_b128 a[120:123], v2 offset:23680                   // 0000000048BC: DBFE5C80 78000002
	ds_read_b128 a[124:127], v2 offset:23744                   // 0000000048C4: DBFE5CC0 7C000002
	ds_read_b32 v27, v3 offset:27904                           // 0000000048CC: D86C6D00 1B000003
	ds_read_b32 v28, v3 offset:28160                           // 0000000048D4: D86C6E00 1C000003
	v_mfma_f32_16x16x128_f8f6f4 v[156:159], a[56:63], a[184:191], 0// 0000000048DC: D3AD009C 1A037138
	v_mul_f32_dpp v58, v38, v33 row_newbcast:2 row_mask:0xf bank_mask:0xf// 0000000048E4: 0A7442FA FF015226
	v_mov_b32_e32 v59, v58                                     // 0000000048EC: 7E76033A
	v_pk_fma_f32 v[96:97], v[128:129], v[58:59], v[96:97]      // 0000000048F0: D3B04060 1D827580
	v_pk_fma_f32 v[98:99], v[130:131], v[58:59], v[98:99]      // 0000000048F8: D3B04062 1D8A7582
	v_pk_fma_f32 v[112:113], v[144:145], v[58:59], v[112:113]  // 000000004900: D3B04070 1DC27590
	v_pk_fma_f32 v[114:115], v[146:147], v[58:59], v[114:115]  // 000000004908: D3B04072 1DCA7592
	v_mul_f32_dpp v58, v38, v34 row_newbcast:2 row_mask:0xf bank_mask:0xf// 000000004910: 0A7444FA FF015226
	v_mov_b32_e32 v59, v58                                     // 000000004918: 7E76033A
	v_pk_fma_f32 v[100:101], v[132:133], v[58:59], v[100:101]  // 00000000491C: D3B04064 1D927584
	v_pk_fma_f32 v[102:103], v[134:135], v[58:59], v[102:103]  // 000000004924: D3B04066 1D9A7586
	v_pk_fma_f32 v[116:117], v[148:149], v[58:59], v[116:117]  // 00000000492C: D3B04074 1DD27594
	v_pk_fma_f32 v[118:119], v[150:151], v[58:59], v[118:119]  // 000000004934: D3B04076 1DDA7596
	v_mul_f32_dpp v58, v38, v35 row_newbcast:2 row_mask:0xf bank_mask:0xf// 00000000493C: 0A7446FA FF015226
	v_mov_b32_e32 v59, v58                                     // 000000004944: 7E76033A
	v_pk_fma_f32 v[104:105], v[136:137], v[58:59], v[104:105]  // 000000004948: D3B04068 1DA27588
	v_pk_fma_f32 v[106:107], v[138:139], v[58:59], v[106:107]  // 000000004950: D3B0406A 1DAA758A
	v_pk_fma_f32 v[120:121], v[152:153], v[58:59], v[120:121]  // 000000004958: D3B04078 1DE27598
	v_pk_fma_f32 v[122:123], v[154:155], v[58:59], v[122:123]  // 000000004960: D3B0407A 1DEA759A
	v_mul_f32_dpp v58, v38, v36 row_newbcast:2 row_mask:0xf bank_mask:0xf// 000000004968: 0A7448FA FF015226
	v_mov_b32_e32 v59, v58                                     // 000000004970: 7E76033A
	v_pk_fma_f32 v[108:109], v[140:141], v[58:59], v[108:109]  // 000000004974: D3B0406C 1DB2758C
	v_pk_fma_f32 v[110:111], v[142:143], v[58:59], v[110:111]  // 00000000497C: D3B0406E 1DBA758E
	v_pk_fma_f32 v[124:125], v[156:157], v[58:59], v[124:125]  // 000000004984: D3B0407C 1DF2759C
	v_pk_fma_f32 v[126:127], v[158:159], v[58:59], v[126:127]  // 00000000498C: D3B0407E 1DFA759E
	s_add_u32 s56, 0x200, s76                                  // 000000004994: 80384CFF 00000200
	s_cmp_lt_u32 s56, s77                                      // 00000000499C: BF0A4D38
	s_cselect_b32 s53, s53, 0                                  // 0000000049A0: 85358035
	s_cselect_b32 s3, s3, 0                                    // 0000000049A4: 85038003
	s_add_u32 s56, 0x200, s76                                  // 0000000049A8: 80384CFF 00000200
	s_cmp_lt_u32 s56, s77                                      // 0000000049B0: BF0A4D38
	s_cselect_b32 s54, s54, 0                                  // 0000000049B4: 85368036
	s_add_u32 s20, s53, s20                                    // 0000000049B8: 80141435
	s_addc_u32 s21, 0, s21                                     // 0000000049BC: 82151580
	s_add_u32 s28, s3, s28                                     // 0000000049C0: 801C1C03
	s_addc_u32 s29, 0, s29                                     // 0000000049C4: 821D1D80
	s_add_u32 s24, s54, s24                                    // 0000000049C8: 80181836
	s_addc_u32 s25, 0, s25                                     // 0000000049CC: 82191980
	s_add_u32 s96, s94, s96                                    // 0000000049D0: 8060605E
	s_addc_u32 s97, 0, s97                                     // 0000000049D4: 82616180
	s_addk_i32 s76, 0x100                                      // 0000000049D8: B74C0100
	s_cmp_lt_i32 s76, s77                                      // 0000000049DC: BF044D4C
	s_cbranch_scc0 label_06FA                                  // 0000000049E0: BF840001
	s_branch label_03FB                                        // 0000000049E4: BF82FD01

00000000000049e8 <label_06FA>:
	s_mov_b32 s20, 0                                           // 0000000049E8: BE940080
	s_cmp_lt_u32 s93, s62                                      // 0000000049EC: BF0A3E5D
	s_cselect_b32 s56, 0, 1                                    // 0000000049F0: 85388180
	s_lshl1_add_u32 s20, s20, s56                              // 0000000049F4: 97143814
	s_cmp_lt_u32 s92, s62                                      // 0000000049F8: BF0A3E5C
	s_cselect_b32 s56, 0, 1                                    // 0000000049FC: 85388180
	s_lshl1_add_u32 s20, s20, s56                              // 000000004A00: 97143814
	s_cmp_lt_u32 s91, s62                                      // 000000004A04: BF0A3E5B
	s_cselect_b32 s56, 0, 1                                    // 000000004A08: 85388180
	s_lshl1_add_u32 s20, s20, s56                              // 000000004A0C: 97143814
	s_cmp_lt_u32 s90, s62                                      // 000000004A10: BF0A3E5A
	s_cselect_b32 s56, 0, 1                                    // 000000004A14: 85388180
	s_lshl1_add_u32 s20, s20, s56                              // 000000004A18: 97143814
	s_cmp_lt_u32 s89, s62                                      // 000000004A1C: BF0A3E59
	s_cselect_b32 s56, 0, 1                                    // 000000004A20: 85388180
	s_lshl1_add_u32 s20, s20, s56                              // 000000004A24: 97143814
	s_cmp_lt_u32 s88, s62                                      // 000000004A28: BF0A3E58
	s_cselect_b32 s56, 0, 1                                    // 000000004A2C: 85388180
	s_lshl1_add_u32 s20, s20, s56                              // 000000004A30: 97143814
	s_cmp_lt_u32 s87, s62                                      // 000000004A34: BF0A3E57
	s_cselect_b32 s56, 0, 1                                    // 000000004A38: 85388180
	s_lshl1_add_u32 s20, s20, s56                              // 000000004A3C: 97143814
	s_cmp_lt_u32 s86, s62                                      // 000000004A40: BF0A3E56
	s_cselect_b32 s56, 0, 1                                    // 000000004A44: 85388180
	s_lshl1_add_u32 s20, s20, s56                              // 000000004A48: 97143814
	s_cmp_lt_u32 s85, s62                                      // 000000004A4C: BF0A3E55
	s_cselect_b32 s56, 0, 1                                    // 000000004A50: 85388180
	s_lshl1_add_u32 s20, s20, s56                              // 000000004A54: 97143814
	s_cmp_lt_u32 s84, s62                                      // 000000004A58: BF0A3E54
	s_cselect_b32 s56, 0, 1                                    // 000000004A5C: 85388180
	s_lshl1_add_u32 s20, s20, s56                              // 000000004A60: 97143814
	s_cmp_lt_u32 s83, s62                                      // 000000004A64: BF0A3E53
	s_cselect_b32 s56, 0, 1                                    // 000000004A68: 85388180
	s_lshl1_add_u32 s20, s20, s56                              // 000000004A6C: 97143814
	s_cmp_lt_u32 s82, s62                                      // 000000004A70: BF0A3E52
	s_cselect_b32 s56, 0, 1                                    // 000000004A74: 85388180
	s_lshl1_add_u32 s20, s20, s56                              // 000000004A78: 97143814
	s_cmp_lt_u32 s81, s62                                      // 000000004A7C: BF0A3E51
	s_cselect_b32 s56, 0, 1                                    // 000000004A80: 85388180
	s_lshl1_add_u32 s20, s20, s56                              // 000000004A84: 97143814
	s_cmp_lt_u32 s80, s62                                      // 000000004A88: BF0A3E50
	s_cselect_b32 s56, 0, 1                                    // 000000004A8C: 85388180
	s_lshl1_add_u32 s20, s20, s56                              // 000000004A90: 97143814
	s_cmp_lt_u32 s79, s62                                      // 000000004A94: BF0A3E4F
	s_cselect_b32 s56, 0, 1                                    // 000000004A98: 85388180
	s_lshl1_add_u32 s20, s20, s56                              // 000000004A9C: 97143814
	s_cmp_lt_u32 s78, s62                                      // 000000004AA0: BF0A3E4E
	s_cselect_b32 s56, 0, 1                                    // 000000004AA4: 85388180
	s_lshl1_add_u32 s20, s20, s56                              // 000000004AA8: 97143814
	s_waitcnt vmcnt(4)                                         // 000000004AAC: BF8C0F74
	buffer_load_dwordx4 a[0:3], v49, s[12:15], 0 offen         // 000000004AB0: E05C1000 80830031
	v_mul_f32_e32 v58, v64, v64                                // 000000004AB8: 0A748140
	v_mul_f32_e32 v59, v65, v65                                // 000000004ABC: 0A768341
	v_mul_f32_e32 v60, v66, v66                                // 000000004AC0: 0A788542
	v_mul_f32_e32 v61, v67, v67                                // 000000004AC4: 0A7A8743
	s_mov_b32 s3, 0xbd92220c                                   // 000000004AC8: BE8300FF BD92220C
	v_fma_f32 v58, v58, s3, v1                                 // 000000004AD0: D1CB003A 0404073A
	v_fma_f32 v59, v59, s3, v1                                 // 000000004AD8: D1CB003B 0404073B
	v_fma_f32 v60, v60, s3, v1                                 // 000000004AE0: D1CB003C 0404073C
	v_fma_f32 v61, v61, s3, v1                                 // 000000004AE8: D1CB003D 0404073D
	v_mul_f32_e32 v58, v58, v64                                // 000000004AF0: 0A74813A
	v_mul_f32_e32 v59, v59, v65                                // 000000004AF4: 0A76833B
	v_mul_f32_e32 v60, v60, v66                                // 000000004AF8: 0A78853C
	v_mul_f32_e32 v61, v61, v67                                // 000000004AFC: 0A7A873D
	v_mul_f32_e64 v58, v58, s6                                 // 000000004B00: D105003A 00000D3A
	v_mul_f32_e64 v59, v59, s6                                 // 000000004B08: D105003B 00000D3B
	v_mul_f32_e64 v60, v60, s6                                 // 000000004B10: D105003C 00000D3C
	v_mul_f32_e64 v61, v61, s6                                 // 000000004B18: D105003D 00000D3D
	v_exp_f32_e32 v58, v58                                     // 000000004B20: 7E74413A
	v_exp_f32_e32 v59, v59                                     // 000000004B24: 7E76413B
	v_exp_f32_e32 v60, v60                                     // 000000004B28: 7E78413C
	v_exp_f32_e32 v61, v61                                     // 000000004B2C: 7E7A413D
	buffer_load_dwordx4 a[4:7], v49, s[12:15], 0 offen offset:1024// 000000004B30: E05C1400 80830431
	v_add_f32_e64 v58, v58, 1.0                                // 000000004B38: D101003A 0001E53A
	v_add_f32_e64 v59, v59, 1.0                                // 000000004B40: D101003B 0001E53B
	v_add_f32_e64 v60, v60, 1.0                                // 000000004B48: D101003C 0001E53C
	v_add_f32_e64 v61, v61, 1.0                                // 000000004B50: D101003D 0001E53D
	v_rcp_f32_e32 v58, v58                                     // 000000004B58: 7E74453A
	v_rcp_f32_e32 v59, v59                                     // 000000004B5C: 7E76453B
	v_rcp_f32_e32 v60, v60                                     // 000000004B60: 7E78453C
	v_rcp_f32_e32 v61, v61                                     // 000000004B64: 7E7A453D
	v_mul_f32_e32 v64, v64, v58                                // 000000004B68: 0A807540
	v_mul_f32_e32 v65, v65, v59                                // 000000004B6C: 0A827741
	v_mul_f32_e32 v66, v66, v60                                // 000000004B70: 0A847942
	v_mul_f32_e32 v67, v67, v61                                // 000000004B74: 0A867B43
	v_mul_f32_e32 v64, v64, v96                                // 000000004B78: 0A80C140
	v_mul_f32_e32 v65, v65, v97                                // 000000004B7C: 0A82C341
	v_mul_f32_e32 v66, v66, v98                                // 000000004B80: 0A84C542
	v_mul_f32_e32 v67, v67, v99                                // 000000004B84: 0A86C743
	buffer_load_dwordx4 a[8:11], v50, s[12:15], 0 offen        // 000000004B88: E05C1000 80830832
	v_mul_f32_e32 v58, v68, v68                                // 000000004B90: 0A748944
	v_mul_f32_e32 v59, v69, v69                                // 000000004B94: 0A768B45
	v_mul_f32_e32 v60, v70, v70                                // 000000004B98: 0A788D46
	v_mul_f32_e32 v61, v71, v71                                // 000000004B9C: 0A7A8F47
	s_mov_b32 s3, 0xbd92220c                                   // 000000004BA0: BE8300FF BD92220C
	v_fma_f32 v58, v58, s3, v1                                 // 000000004BA8: D1CB003A 0404073A
	v_fma_f32 v59, v59, s3, v1                                 // 000000004BB0: D1CB003B 0404073B
	v_fma_f32 v60, v60, s3, v1                                 // 000000004BB8: D1CB003C 0404073C
	v_fma_f32 v61, v61, s3, v1                                 // 000000004BC0: D1CB003D 0404073D
	v_mul_f32_e32 v58, v58, v68                                // 000000004BC8: 0A74893A
	v_mul_f32_e32 v59, v59, v69                                // 000000004BCC: 0A768B3B
	v_mul_f32_e32 v60, v60, v70                                // 000000004BD0: 0A788D3C
	v_mul_f32_e32 v61, v61, v71                                // 000000004BD4: 0A7A8F3D
	v_mul_f32_e64 v58, v58, s6                                 // 000000004BD8: D105003A 00000D3A
	v_mul_f32_e64 v59, v59, s6                                 // 000000004BE0: D105003B 00000D3B
	v_mul_f32_e64 v60, v60, s6                                 // 000000004BE8: D105003C 00000D3C
	v_mul_f32_e64 v61, v61, s6                                 // 000000004BF0: D105003D 00000D3D
	v_exp_f32_e32 v58, v58                                     // 000000004BF8: 7E74413A
	v_exp_f32_e32 v59, v59                                     // 000000004BFC: 7E76413B
	v_exp_f32_e32 v60, v60                                     // 000000004C00: 7E78413C
	v_exp_f32_e32 v61, v61                                     // 000000004C04: 7E7A413D
	buffer_load_dwordx4 a[12:15], v50, s[12:15], 0 offen offset:1024// 000000004C08: E05C1400 80830C32
	v_add_f32_e64 v58, v58, 1.0                                // 000000004C10: D101003A 0001E53A
	v_add_f32_e64 v59, v59, 1.0                                // 000000004C18: D101003B 0001E53B
	v_add_f32_e64 v60, v60, 1.0                                // 000000004C20: D101003C 0001E53C
	v_add_f32_e64 v61, v61, 1.0                                // 000000004C28: D101003D 0001E53D
	v_rcp_f32_e32 v58, v58                                     // 000000004C30: 7E74453A
	v_rcp_f32_e32 v59, v59                                     // 000000004C34: 7E76453B
	v_rcp_f32_e32 v60, v60                                     // 000000004C38: 7E78453C
	v_rcp_f32_e32 v61, v61                                     // 000000004C3C: 7E7A453D
	v_mul_f32_e32 v68, v68, v58                                // 000000004C40: 0A887544
	v_mul_f32_e32 v69, v69, v59                                // 000000004C44: 0A8A7745
	v_mul_f32_e32 v70, v70, v60                                // 000000004C48: 0A8C7946
	v_mul_f32_e32 v71, v71, v61                                // 000000004C4C: 0A8E7B47
	v_mul_f32_e32 v68, v68, v100                               // 000000004C50: 0A88C944
	v_mul_f32_e32 v69, v69, v101                               // 000000004C54: 0A8ACB45
	v_mul_f32_e32 v70, v70, v102                               // 000000004C58: 0A8CCD46
	v_mul_f32_e32 v71, v71, v103                               // 000000004C5C: 0A8ECF47
	s_waitcnt vmcnt(4)                                         // 000000004C60: BF8C0F74
	buffer_load_dwordx4 a[16:19], v51, s[12:15], 0 offen       // 000000004C64: E05C1000 80831033
	v_mul_f32_e32 v58, v72, v72                                // 000000004C6C: 0A749148
	v_mul_f32_e32 v59, v73, v73                                // 000000004C70: 0A769349
	v_mul_f32_e32 v60, v74, v74                                // 000000004C74: 0A78954A
	v_mul_f32_e32 v61, v75, v75                                // 000000004C78: 0A7A974B
	s_mov_b32 s3, 0xbd92220c                                   // 000000004C7C: BE8300FF BD92220C
	v_fma_f32 v58, v58, s3, v1                                 // 000000004C84: D1CB003A 0404073A
	v_fma_f32 v59, v59, s3, v1                                 // 000000004C8C: D1CB003B 0404073B
	v_fma_f32 v60, v60, s3, v1                                 // 000000004C94: D1CB003C 0404073C
	v_fma_f32 v61, v61, s3, v1                                 // 000000004C9C: D1CB003D 0404073D
	v_mul_f32_e32 v58, v58, v72                                // 000000004CA4: 0A74913A
	v_mul_f32_e32 v59, v59, v73                                // 000000004CA8: 0A76933B
	v_mul_f32_e32 v60, v60, v74                                // 000000004CAC: 0A78953C
	v_mul_f32_e32 v61, v61, v75                                // 000000004CB0: 0A7A973D
	v_mul_f32_e64 v58, v58, s6                                 // 000000004CB4: D105003A 00000D3A
	v_mul_f32_e64 v59, v59, s6                                 // 000000004CBC: D105003B 00000D3B
	v_mul_f32_e64 v60, v60, s6                                 // 000000004CC4: D105003C 00000D3C
	v_mul_f32_e64 v61, v61, s6                                 // 000000004CCC: D105003D 00000D3D
	v_exp_f32_e32 v58, v58                                     // 000000004CD4: 7E74413A
	v_exp_f32_e32 v59, v59                                     // 000000004CD8: 7E76413B
	v_exp_f32_e32 v60, v60                                     // 000000004CDC: 7E78413C
	v_exp_f32_e32 v61, v61                                     // 000000004CE0: 7E7A413D
	buffer_load_dwordx4 a[20:23], v51, s[12:15], 0 offen offset:1024// 000000004CE4: E05C1400 80831433
	v_add_f32_e64 v58, v58, 1.0                                // 000000004CEC: D101003A 0001E53A
	v_add_f32_e64 v59, v59, 1.0                                // 000000004CF4: D101003B 0001E53B
	v_add_f32_e64 v60, v60, 1.0                                // 000000004CFC: D101003C 0001E53C
	v_add_f32_e64 v61, v61, 1.0                                // 000000004D04: D101003D 0001E53D
	v_rcp_f32_e32 v58, v58                                     // 000000004D0C: 7E74453A
	v_rcp_f32_e32 v59, v59                                     // 000000004D10: 7E76453B
	v_rcp_f32_e32 v60, v60                                     // 000000004D14: 7E78453C
	v_rcp_f32_e32 v61, v61                                     // 000000004D18: 7E7A453D
	v_mul_f32_e32 v72, v72, v58                                // 000000004D1C: 0A907548
	v_mul_f32_e32 v73, v73, v59                                // 000000004D20: 0A927749
	v_mul_f32_e32 v74, v74, v60                                // 000000004D24: 0A94794A
	v_mul_f32_e32 v75, v75, v61                                // 000000004D28: 0A967B4B
	v_mul_f32_e32 v72, v72, v104                               // 000000004D2C: 0A90D148
	v_mul_f32_e32 v73, v73, v105                               // 000000004D30: 0A92D349
	v_mul_f32_e32 v74, v74, v106                               // 000000004D34: 0A94D54A
	v_mul_f32_e32 v75, v75, v107                               // 000000004D38: 0A96D74B
	buffer_load_dwordx4 a[24:27], v52, s[12:15], 0 offen       // 000000004D3C: E05C1000 80831834
	v_mul_f32_e32 v58, v76, v76                                // 000000004D44: 0A74994C
	v_mul_f32_e32 v59, v77, v77                                // 000000004D48: 0A769B4D
	v_mul_f32_e32 v60, v78, v78                                // 000000004D4C: 0A789D4E
	v_mul_f32_e32 v61, v79, v79                                // 000000004D50: 0A7A9F4F
	s_mov_b32 s3, 0xbd92220c                                   // 000000004D54: BE8300FF BD92220C
	v_fma_f32 v58, v58, s3, v1                                 // 000000004D5C: D1CB003A 0404073A
	v_fma_f32 v59, v59, s3, v1                                 // 000000004D64: D1CB003B 0404073B
	v_fma_f32 v60, v60, s3, v1                                 // 000000004D6C: D1CB003C 0404073C
	v_fma_f32 v61, v61, s3, v1                                 // 000000004D74: D1CB003D 0404073D
	v_mul_f32_e32 v58, v58, v76                                // 000000004D7C: 0A74993A
	v_mul_f32_e32 v59, v59, v77                                // 000000004D80: 0A769B3B
	v_mul_f32_e32 v60, v60, v78                                // 000000004D84: 0A789D3C
	v_mul_f32_e32 v61, v61, v79                                // 000000004D88: 0A7A9F3D
	v_mul_f32_e64 v58, v58, s6                                 // 000000004D8C: D105003A 00000D3A
	v_mul_f32_e64 v59, v59, s6                                 // 000000004D94: D105003B 00000D3B
	v_mul_f32_e64 v60, v60, s6                                 // 000000004D9C: D105003C 00000D3C
	v_mul_f32_e64 v61, v61, s6                                 // 000000004DA4: D105003D 00000D3D
	v_exp_f32_e32 v58, v58                                     // 000000004DAC: 7E74413A
	v_exp_f32_e32 v59, v59                                     // 000000004DB0: 7E76413B
	v_exp_f32_e32 v60, v60                                     // 000000004DB4: 7E78413C
	v_exp_f32_e32 v61, v61                                     // 000000004DB8: 7E7A413D
	buffer_load_dwordx4 a[28:31], v52, s[12:15], 0 offen offset:1024// 000000004DBC: E05C1400 80831C34
	v_add_f32_e64 v58, v58, 1.0                                // 000000004DC4: D101003A 0001E53A
	v_add_f32_e64 v59, v59, 1.0                                // 000000004DCC: D101003B 0001E53B
	v_add_f32_e64 v60, v60, 1.0                                // 000000004DD4: D101003C 0001E53C
	v_add_f32_e64 v61, v61, 1.0                                // 000000004DDC: D101003D 0001E53D
	v_rcp_f32_e32 v58, v58                                     // 000000004DE4: 7E74453A
	v_rcp_f32_e32 v59, v59                                     // 000000004DE8: 7E76453B
	v_rcp_f32_e32 v60, v60                                     // 000000004DEC: 7E78453C
	v_rcp_f32_e32 v61, v61                                     // 000000004DF0: 7E7A453D
	v_mul_f32_e32 v76, v76, v58                                // 000000004DF4: 0A98754C
	v_mul_f32_e32 v77, v77, v59                                // 000000004DF8: 0A9A774D
	v_mul_f32_e32 v78, v78, v60                                // 000000004DFC: 0A9C794E
	v_mul_f32_e32 v79, v79, v61                                // 000000004E00: 0A9E7B4F
	v_mul_f32_e32 v76, v76, v108                               // 000000004E04: 0A98D94C
	v_mul_f32_e32 v77, v77, v109                               // 000000004E08: 0A9ADB4D
	v_mul_f32_e32 v78, v78, v110                               // 000000004E0C: 0A9CDD4E
	v_mul_f32_e32 v79, v79, v111                               // 000000004E10: 0A9EDF4F
	s_waitcnt vmcnt(4)                                         // 000000004E14: BF8C0F74
	v_mul_f32_e32 v58, v80, v80                                // 000000004E18: 0A74A150
	v_mul_f32_e32 v59, v81, v81                                // 000000004E1C: 0A76A351
	v_mul_f32_e32 v60, v82, v82                                // 000000004E20: 0A78A552
	v_mul_f32_e32 v61, v83, v83                                // 000000004E24: 0A7AA753
	s_mov_b32 s3, 0xbd92220c                                   // 000000004E28: BE8300FF BD92220C
	v_fma_f32 v58, v58, s3, v1                                 // 000000004E30: D1CB003A 0404073A
	v_fma_f32 v59, v59, s3, v1                                 // 000000004E38: D1CB003B 0404073B
	v_fma_f32 v60, v60, s3, v1                                 // 000000004E40: D1CB003C 0404073C
	v_fma_f32 v61, v61, s3, v1                                 // 000000004E48: D1CB003D 0404073D
	v_mul_f32_e32 v58, v58, v80                                // 000000004E50: 0A74A13A
	v_mul_f32_e32 v59, v59, v81                                // 000000004E54: 0A76A33B
	v_mul_f32_e32 v60, v60, v82                                // 000000004E58: 0A78A53C
	v_mul_f32_e32 v61, v61, v83                                // 000000004E5C: 0A7AA73D
	v_mul_f32_e64 v58, v58, s6                                 // 000000004E60: D105003A 00000D3A
	v_mul_f32_e64 v59, v59, s6                                 // 000000004E68: D105003B 00000D3B
	v_mul_f32_e64 v60, v60, s6                                 // 000000004E70: D105003C 00000D3C
	v_mul_f32_e64 v61, v61, s6                                 // 000000004E78: D105003D 00000D3D
	v_exp_f32_e32 v58, v58                                     // 000000004E80: 7E74413A
	v_exp_f32_e32 v59, v59                                     // 000000004E84: 7E76413B
	v_exp_f32_e32 v60, v60                                     // 000000004E88: 7E78413C
	v_exp_f32_e32 v61, v61                                     // 000000004E8C: 7E7A413D
	v_add_f32_e64 v58, v58, 1.0                                // 000000004E90: D101003A 0001E53A
	v_add_f32_e64 v59, v59, 1.0                                // 000000004E98: D101003B 0001E53B
	v_add_f32_e64 v60, v60, 1.0                                // 000000004EA0: D101003C 0001E53C
	v_add_f32_e64 v61, v61, 1.0                                // 000000004EA8: D101003D 0001E53D
	v_rcp_f32_e32 v58, v58                                     // 000000004EB0: 7E74453A
	v_rcp_f32_e32 v59, v59                                     // 000000004EB4: 7E76453B
	v_rcp_f32_e32 v60, v60                                     // 000000004EB8: 7E78453C
	v_rcp_f32_e32 v61, v61                                     // 000000004EBC: 7E7A453D
	v_mul_f32_e32 v80, v80, v58                                // 000000004EC0: 0AA07550
	v_mul_f32_e32 v81, v81, v59                                // 000000004EC4: 0AA27751
	v_mul_f32_e32 v82, v82, v60                                // 000000004EC8: 0AA47952
	v_mul_f32_e32 v83, v83, v61                                // 000000004ECC: 0AA67B53
	v_mul_f32_e32 v80, v80, v112                               // 000000004ED0: 0AA0E150
	v_mul_f32_e32 v81, v81, v113                               // 000000004ED4: 0AA2E351
	v_mul_f32_e32 v82, v82, v114                               // 000000004ED8: 0AA4E552
	v_mul_f32_e32 v83, v83, v115                               // 000000004EDC: 0AA6E753
	v_mul_f32_e32 v58, v84, v84                                // 000000004EE0: 0A74A954
	v_mul_f32_e32 v59, v85, v85                                // 000000004EE4: 0A76AB55
	v_mul_f32_e32 v60, v86, v86                                // 000000004EE8: 0A78AD56
	v_mul_f32_e32 v61, v87, v87                                // 000000004EEC: 0A7AAF57
	s_mov_b32 s3, 0xbd92220c                                   // 000000004EF0: BE8300FF BD92220C
	v_fma_f32 v58, v58, s3, v1                                 // 000000004EF8: D1CB003A 0404073A
	v_fma_f32 v59, v59, s3, v1                                 // 000000004F00: D1CB003B 0404073B
	v_fma_f32 v60, v60, s3, v1                                 // 000000004F08: D1CB003C 0404073C
	v_fma_f32 v61, v61, s3, v1                                 // 000000004F10: D1CB003D 0404073D
	v_mul_f32_e32 v58, v58, v84                                // 000000004F18: 0A74A93A
	v_mul_f32_e32 v59, v59, v85                                // 000000004F1C: 0A76AB3B
	v_mul_f32_e32 v60, v60, v86                                // 000000004F20: 0A78AD3C
	v_mul_f32_e32 v61, v61, v87                                // 000000004F24: 0A7AAF3D
	v_mul_f32_e64 v58, v58, s6                                 // 000000004F28: D105003A 00000D3A
	v_mul_f32_e64 v59, v59, s6                                 // 000000004F30: D105003B 00000D3B
	v_mul_f32_e64 v60, v60, s6                                 // 000000004F38: D105003C 00000D3C
	v_mul_f32_e64 v61, v61, s6                                 // 000000004F40: D105003D 00000D3D
	v_exp_f32_e32 v58, v58                                     // 000000004F48: 7E74413A
	v_exp_f32_e32 v59, v59                                     // 000000004F4C: 7E76413B
	v_exp_f32_e32 v60, v60                                     // 000000004F50: 7E78413C
	v_exp_f32_e32 v61, v61                                     // 000000004F54: 7E7A413D
	v_add_f32_e64 v58, v58, 1.0                                // 000000004F58: D101003A 0001E53A
	v_add_f32_e64 v59, v59, 1.0                                // 000000004F60: D101003B 0001E53B
	v_add_f32_e64 v60, v60, 1.0                                // 000000004F68: D101003C 0001E53C
	v_add_f32_e64 v61, v61, 1.0                                // 000000004F70: D101003D 0001E53D
	v_rcp_f32_e32 v58, v58                                     // 000000004F78: 7E74453A
	v_rcp_f32_e32 v59, v59                                     // 000000004F7C: 7E76453B
	v_rcp_f32_e32 v60, v60                                     // 000000004F80: 7E78453C
	v_rcp_f32_e32 v61, v61                                     // 000000004F84: 7E7A453D
	v_mul_f32_e32 v84, v84, v58                                // 000000004F88: 0AA87554
	v_mul_f32_e32 v85, v85, v59                                // 000000004F8C: 0AAA7755
	v_mul_f32_e32 v86, v86, v60                                // 000000004F90: 0AAC7956
	v_mul_f32_e32 v87, v87, v61                                // 000000004F94: 0AAE7B57
	v_mul_f32_e32 v84, v84, v116                               // 000000004F98: 0AA8E954
	v_mul_f32_e32 v85, v85, v117                               // 000000004F9C: 0AAAEB55
	v_mul_f32_e32 v86, v86, v118                               // 000000004FA0: 0AACED56
	v_mul_f32_e32 v87, v87, v119                               // 000000004FA4: 0AAEEF57
	s_waitcnt vmcnt(4)                                         // 000000004FA8: BF8C0F74
	v_mul_f32_e32 v58, v88, v88                                // 000000004FAC: 0A74B158
	v_mul_f32_e32 v59, v89, v89                                // 000000004FB0: 0A76B359
	v_mul_f32_e32 v60, v90, v90                                // 000000004FB4: 0A78B55A
	v_mul_f32_e32 v61, v91, v91                                // 000000004FB8: 0A7AB75B
	s_mov_b32 s3, 0xbd92220c                                   // 000000004FBC: BE8300FF BD92220C
	v_fma_f32 v58, v58, s3, v1                                 // 000000004FC4: D1CB003A 0404073A
	v_fma_f32 v59, v59, s3, v1                                 // 000000004FCC: D1CB003B 0404073B
	v_fma_f32 v60, v60, s3, v1                                 // 000000004FD4: D1CB003C 0404073C
	v_fma_f32 v61, v61, s3, v1                                 // 000000004FDC: D1CB003D 0404073D
	v_mul_f32_e32 v58, v58, v88                                // 000000004FE4: 0A74B13A
	v_mul_f32_e32 v59, v59, v89                                // 000000004FE8: 0A76B33B
	v_mul_f32_e32 v60, v60, v90                                // 000000004FEC: 0A78B53C
	v_mul_f32_e32 v61, v61, v91                                // 000000004FF0: 0A7AB73D
	v_mul_f32_e64 v58, v58, s6                                 // 000000004FF4: D105003A 00000D3A
	v_mul_f32_e64 v59, v59, s6                                 // 000000004FFC: D105003B 00000D3B
	v_mul_f32_e64 v60, v60, s6                                 // 000000005004: D105003C 00000D3C
	v_mul_f32_e64 v61, v61, s6                                 // 00000000500C: D105003D 00000D3D
	v_exp_f32_e32 v58, v58                                     // 000000005014: 7E74413A
	v_exp_f32_e32 v59, v59                                     // 000000005018: 7E76413B
	v_exp_f32_e32 v60, v60                                     // 00000000501C: 7E78413C
	v_exp_f32_e32 v61, v61                                     // 000000005020: 7E7A413D
	v_add_f32_e64 v58, v58, 1.0                                // 000000005024: D101003A 0001E53A
	v_add_f32_e64 v59, v59, 1.0                                // 00000000502C: D101003B 0001E53B
	v_add_f32_e64 v60, v60, 1.0                                // 000000005034: D101003C 0001E53C
	v_add_f32_e64 v61, v61, 1.0                                // 00000000503C: D101003D 0001E53D
	v_rcp_f32_e32 v58, v58                                     // 000000005044: 7E74453A
	v_rcp_f32_e32 v59, v59                                     // 000000005048: 7E76453B
	v_rcp_f32_e32 v60, v60                                     // 00000000504C: 7E78453C
	v_rcp_f32_e32 v61, v61                                     // 000000005050: 7E7A453D
	v_mul_f32_e32 v88, v88, v58                                // 000000005054: 0AB07558
	v_mul_f32_e32 v89, v89, v59                                // 000000005058: 0AB27759
	v_mul_f32_e32 v90, v90, v60                                // 00000000505C: 0AB4795A
	v_mul_f32_e32 v91, v91, v61                                // 000000005060: 0AB67B5B
	v_mul_f32_e32 v88, v88, v120                               // 000000005064: 0AB0F158
	v_mul_f32_e32 v89, v89, v121                               // 000000005068: 0AB2F359
	v_mul_f32_e32 v90, v90, v122                               // 00000000506C: 0AB4F55A
	v_mul_f32_e32 v91, v91, v123                               // 000000005070: 0AB6F75B
	v_mul_f32_e32 v58, v92, v92                                // 000000005074: 0A74B95C
	v_mul_f32_e32 v59, v93, v93                                // 000000005078: 0A76BB5D
	v_mul_f32_e32 v60, v94, v94                                // 00000000507C: 0A78BD5E
	v_mul_f32_e32 v61, v95, v95                                // 000000005080: 0A7ABF5F
	s_mov_b32 s3, 0xbd92220c                                   // 000000005084: BE8300FF BD92220C
	v_fma_f32 v58, v58, s3, v1                                 // 00000000508C: D1CB003A 0404073A
	v_fma_f32 v59, v59, s3, v1                                 // 000000005094: D1CB003B 0404073B
	v_fma_f32 v60, v60, s3, v1                                 // 00000000509C: D1CB003C 0404073C
	v_fma_f32 v61, v61, s3, v1                                 // 0000000050A4: D1CB003D 0404073D
	v_mul_f32_e32 v58, v58, v92                                // 0000000050AC: 0A74B93A
	v_mul_f32_e32 v59, v59, v93                                // 0000000050B0: 0A76BB3B
	v_mul_f32_e32 v60, v60, v94                                // 0000000050B4: 0A78BD3C
	v_mul_f32_e32 v61, v61, v95                                // 0000000050B8: 0A7ABF3D
	v_mul_f32_e64 v58, v58, s6                                 // 0000000050BC: D105003A 00000D3A
	v_mul_f32_e64 v59, v59, s6                                 // 0000000050C4: D105003B 00000D3B
	v_mul_f32_e64 v60, v60, s6                                 // 0000000050CC: D105003C 00000D3C
	v_mul_f32_e64 v61, v61, s6                                 // 0000000050D4: D105003D 00000D3D
	v_exp_f32_e32 v58, v58                                     // 0000000050DC: 7E74413A
	v_exp_f32_e32 v59, v59                                     // 0000000050E0: 7E76413B
	v_exp_f32_e32 v60, v60                                     // 0000000050E4: 7E78413C
	v_exp_f32_e32 v61, v61                                     // 0000000050E8: 7E7A413D
	v_add_f32_e64 v58, v58, 1.0                                // 0000000050EC: D101003A 0001E53A
	v_add_f32_e64 v59, v59, 1.0                                // 0000000050F4: D101003B 0001E53B
	v_add_f32_e64 v60, v60, 1.0                                // 0000000050FC: D101003C 0001E53C
	v_add_f32_e64 v61, v61, 1.0                                // 000000005104: D101003D 0001E53D
	v_rcp_f32_e32 v58, v58                                     // 00000000510C: 7E74453A
	v_rcp_f32_e32 v59, v59                                     // 000000005110: 7E76453B
	v_rcp_f32_e32 v60, v60                                     // 000000005114: 7E78453C
	v_rcp_f32_e32 v61, v61                                     // 000000005118: 7E7A453D
	v_mul_f32_e32 v92, v92, v58                                // 00000000511C: 0AB8755C
	v_mul_f32_e32 v93, v93, v59                                // 000000005120: 0ABA775D
	v_mul_f32_e32 v94, v94, v60                                // 000000005124: 0ABC795E
	v_mul_f32_e32 v95, v95, v61                                // 000000005128: 0ABE7B5F
	v_mul_f32_e32 v92, v92, v124                               // 00000000512C: 0AB8F95C
	v_mul_f32_e32 v93, v93, v125                               // 000000005130: 0ABAFB5D
	v_mul_f32_e32 v94, v94, v126                               // 000000005134: 0ABCFD5E
	v_mul_f32_e32 v95, v95, v127                               // 000000005138: 0ABEFF5F
	buffer_load_dword v37, v8, s[16:19], 0 offen               // 00000000513C: E0501000 80042508
	v_mov_b32_e32 v128, 0x358637bd                             // 000000005144: 7F0002FF 358637BD
	v_mov_b32_e32 v129, 0x358637bd                             // 00000000514C: 7F0202FF 358637BD
	v_mov_b32_e32 v130, 0x358637bd                             // 000000005154: 7F0402FF 358637BD
	v_mov_b32_e32 v131, 0x358637bd                             // 00000000515C: 7F0602FF 358637BD
	v_max3_f32 v128, |v64|, |v65|, v128                        // 000000005164: D1D30380 06028340
	v_max3_f32 v128, |v66|, |v67|, v128                        // 00000000516C: D1D30380 06028742
	v_max3_f32 v129, |v68|, |v69|, v129                        // 000000005174: D1D30381 06068B44
	v_max3_f32 v129, |v70|, |v71|, v129                        // 00000000517C: D1D30381 06068F46
	v_max3_f32 v130, |v72|, |v73|, v130                        // 000000005184: D1D30382 060A9348
	v_max3_f32 v130, |v74|, |v75|, v130                        // 00000000518C: D1D30382 060A974A
	v_max3_f32 v131, |v76|, |v77|, v131                        // 000000005194: D1D30383 060E9B4C
	v_max3_f32 v131, |v78|, |v79|, v131                        // 00000000519C: D1D30383 060E9F4E
	v_max3_f32 v128, |v80|, |v81|, v128                        // 0000000051A4: D1D30380 0602A350
	v_max3_f32 v128, |v82|, |v83|, v128                        // 0000000051AC: D1D30380 0602A752
	v_max3_f32 v129, |v84|, |v85|, v129                        // 0000000051B4: D1D30381 0606AB54
	v_max3_f32 v129, |v86|, |v87|, v129                        // 0000000051BC: D1D30381 0606AF56
	v_max3_f32 v130, |v88|, |v89|, v130                        // 0000000051C4: D1D30382 060AB358
	v_max3_f32 v130, |v90|, |v91|, v130                        // 0000000051CC: D1D30382 060AB75A
	v_max3_f32 v131, |v92|, |v93|, v131                        // 0000000051D4: D1D30383 060EBB5C
	v_max3_f32 v131, |v94|, |v95|, v131                        // 0000000051DC: D1D30383 060EBF5E
	v_mov_b32_e32 v58, v128                                    // 0000000051E4: 7E740380
	s_nop 1                                                    // 0000000051E8: BF800001
	v_permlane32_swap_b32_e32 v58, v128                        // 0000000051EC: 7E74B580
	v_max_f32_e32 v128, v58, v128                              // 0000000051F0: 1701013A
	v_mov_b32_e32 v58, v128                                    // 0000000051F4: 7E740380
	s_nop 1                                                    // 0000000051F8: BF800001
	v_permlane16_swap_b32_e32 v58, v128                        // 0000000051FC: 7E74B380
	v_max_f32_e32 v128, v58, v128                              // 000000005200: 1701013A
	v_mov_b32_e32 v58, v129                                    // 000000005204: 7E740381
	s_nop 1                                                    // 000000005208: BF800001
	v_permlane32_swap_b32_e32 v58, v129                        // 00000000520C: 7E74B581
	v_max_f32_e32 v129, v58, v129                              // 000000005210: 1703033A
	v_mov_b32_e32 v58, v129                                    // 000000005214: 7E740381
	s_nop 1                                                    // 000000005218: BF800001
	v_permlane16_swap_b32_e32 v58, v129                        // 00000000521C: 7E74B381
	v_max_f32_e32 v129, v58, v129                              // 000000005220: 1703033A
	v_mov_b32_e32 v58, v130                                    // 000000005224: 7E740382
	s_nop 1                                                    // 000000005228: BF800001
	v_permlane32_swap_b32_e32 v58, v130                        // 00000000522C: 7E74B582
	v_max_f32_e32 v130, v58, v130                              // 000000005230: 1705053A
	v_mov_b32_e32 v58, v130                                    // 000000005234: 7E740382
	s_nop 1                                                    // 000000005238: BF800001
	v_permlane16_swap_b32_e32 v58, v130                        // 00000000523C: 7E74B382
	v_max_f32_e32 v130, v58, v130                              // 000000005240: 1705053A
	v_mov_b32_e32 v58, v131                                    // 000000005244: 7E740383
	s_nop 1                                                    // 000000005248: BF800001
	v_permlane32_swap_b32_e32 v58, v131                        // 00000000524C: 7E74B583
	v_max_f32_e32 v131, v58, v131                              // 000000005250: 1707073A
	v_mov_b32_e32 v58, v131                                    // 000000005254: 7E740383
	s_nop 1                                                    // 000000005258: BF800001
	v_permlane16_swap_b32_e32 v58, v131                        // 00000000525C: 7E74B383
	v_max_f32_e32 v131, v58, v131                              // 000000005260: 1707073A
	v_lshlrev_b32_e32 v58, 2, v0                               // 000000005264: 24740082
	s_mul_i32 s56, 64, s7                                      // 000000005268: 923807C0
	v_add_u32_e32 v58, s56, v58                                // 00000000526C: 68747438
	s_mov_b32 s56, 0xffff                                      // 000000005270: BEB800FF 0000FFFF
	s_mov_b32 s57, 0                                           // 000000005278: BEB90080
	s_mov_b64 exec, s[56:57]                                   // 00000000527C: BEFE0138
	ds_write_b32 v58, v128 offset:37888                        // 000000005280: D81A9400 0000803A
	ds_write_b32 v58, v129 offset:38144                        // 000000005288: D81A9500 0000813A
	ds_write_b32 v58, v130 offset:38400                        // 000000005290: D81A9600 0000823A
	ds_write_b32 v58, v131 offset:38656                        // 000000005298: D81A9700 0000833A
	s_mov_b32 s56, -1                                          // 0000000052A0: BEB800C1
	s_mov_b32 s57, -1                                          // 0000000052A4: BEB900C1
	s_mov_b64 exec, s[56:57]                                   // 0000000052A8: BEFE0138
	s_waitcnt lgkmcnt(0)                                       // 0000000052AC: BF8CC07F
	s_barrier                                                  // 0000000052B0: BF8A0000
	v_lshlrev_b32_e32 v58, 2, v0                               // 0000000052B4: 24740082
	ds_read_b32 v252, v58 offset:37888                         // 0000000052B8: D86C9400 FC00003A
	ds_read_b32 v253, v58 offset:38144                         // 0000000052C0: D86C9500 FD00003A
	ds_read_b32 v254, v58 offset:38400                         // 0000000052C8: D86C9600 FE00003A
	ds_read_b32 v255, v58 offset:38656                         // 0000000052D0: D86C9700 FF00003A
	s_waitcnt lgkmcnt(0)                                       // 0000000052D8: BF8CC07F
	v_mov_b32_e32 v58, v252                                    // 0000000052DC: 7E7403FC
	s_nop 1                                                    // 0000000052E0: BF800001
	v_permlane32_swap_b32_e32 v58, v252                        // 0000000052E4: 7E74B5FC
	v_max_f32_e32 v252, v58, v252                              // 0000000052E8: 17F9F93A
	v_mov_b32_e32 v58, v252                                    // 0000000052EC: 7E7403FC
	s_nop 1                                                    // 0000000052F0: BF800001
	v_permlane16_swap_b32_e32 v58, v252                        // 0000000052F4: 7E74B3FC
	v_max_f32_e32 v252, v58, v252                              // 0000000052F8: 17F9F93A
	v_mov_b32_e32 v58, v253                                    // 0000000052FC: 7E7403FD
	s_nop 1                                                    // 000000005300: BF800001
	v_permlane32_swap_b32_e32 v58, v253                        // 000000005304: 7E74B5FD
	v_max_f32_e32 v253, v58, v253                              // 000000005308: 17FBFB3A
	v_mov_b32_e32 v58, v253                                    // 00000000530C: 7E7403FD
	s_nop 1                                                    // 000000005310: BF800001
	v_permlane16_swap_b32_e32 v58, v253                        // 000000005314: 7E74B3FD
	v_max_f32_e32 v253, v58, v253                              // 000000005318: 17FBFB3A
	v_mov_b32_e32 v58, v254                                    // 00000000531C: 7E7403FE
	s_nop 1                                                    // 000000005320: BF800001
	v_permlane32_swap_b32_e32 v58, v254                        // 000000005324: 7E74B5FE
	v_max_f32_e32 v254, v58, v254                              // 000000005328: 17FDFD3A
	v_mov_b32_e32 v58, v254                                    // 00000000532C: 7E7403FE
	s_nop 1                                                    // 000000005330: BF800001
	v_permlane16_swap_b32_e32 v58, v254                        // 000000005334: 7E74B3FE
	v_max_f32_e32 v254, v58, v254                              // 000000005338: 17FDFD3A
	v_mov_b32_e32 v58, v255                                    // 00000000533C: 7E7403FF
	s_nop 1                                                    // 000000005340: BF800001
	v_permlane32_swap_b32_e32 v58, v255                        // 000000005344: 7E74B5FF
	v_max_f32_e32 v255, v58, v255                              // 000000005348: 17FFFF3A
	v_mov_b32_e32 v58, v255                                    // 00000000534C: 7E7403FF
	s_nop 1                                                    // 000000005350: BF800001
	v_permlane16_swap_b32_e32 v58, v255                        // 000000005354: 7E74B3FF
	v_max_f32_e32 v255, v58, v255                              // 000000005358: 17FFFF3A
	v_max_f32_e32 v128, v252, v128                             // 00000000535C: 170101FC
	v_max_f32_e32 v129, v253, v129                             // 000000005360: 170303FD
	v_max_f32_e32 v130, v254, v130                             // 000000005364: 170505FE
	v_max_f32_e32 v131, v255, v131                             // 000000005368: 170707FF
	v_rcp_f32_e32 v128, v128                                   // 00000000536C: 7F004580
	v_rcp_f32_e32 v129, v129                                   // 000000005370: 7F024581
	v_rcp_f32_e32 v130, v130                                   // 000000005374: 7F044582
	v_rcp_f32_e32 v131, v131                                   // 000000005378: 7F064583
	v_mov_b32_e32 v58, 0x43e00000                              // 00000000537C: 7E7402FF 43E00000
	v_mul_f32_e32 v128, v58, v128                              // 000000005384: 0B01013A
	v_mul_f32_e32 v129, v58, v129                              // 000000005388: 0B03033A
	v_mul_f32_e32 v130, v58, v130                              // 00000000538C: 0B05053A
	v_mul_f32_e32 v131, v58, v131                              // 000000005390: 0B07073A
	v_mul_f32_e32 v64, v128, v64                               // 000000005394: 0A808180
	v_mul_f32_e32 v65, v128, v65                               // 000000005398: 0A828380
	v_mul_f32_e32 v66, v128, v66                               // 00000000539C: 0A848580
	v_mul_f32_e32 v67, v128, v67                               // 0000000053A0: 0A868780
	v_cvt_pk_fp8_f32 v64, v64, v65                             // 0000000053A4: D2A20040 00028340
	v_cvt_pk_fp8_f32 v64, v66, v67 op_sel:[0,0,1]              // 0000000053AC: D2A24040 00028742
	v_mul_f32_e32 v68, v129, v68                               // 0000000053B4: 0A888981
	v_mul_f32_e32 v69, v129, v69                               // 0000000053B8: 0A8A8B81
	v_mul_f32_e32 v70, v129, v70                               // 0000000053BC: 0A8C8D81
	v_mul_f32_e32 v71, v129, v71                               // 0000000053C0: 0A8E8F81
	v_cvt_pk_fp8_f32 v65, v68, v69                             // 0000000053C4: D2A20041 00028B44
	v_cvt_pk_fp8_f32 v65, v70, v71 op_sel:[0,0,1]              // 0000000053CC: D2A24041 00028F46
	v_mul_f32_e32 v72, v130, v72                               // 0000000053D4: 0A909182
	v_mul_f32_e32 v73, v130, v73                               // 0000000053D8: 0A929382
	v_mul_f32_e32 v74, v130, v74                               // 0000000053DC: 0A949582
	v_mul_f32_e32 v75, v130, v75                               // 0000000053E0: 0A969782
	v_cvt_pk_fp8_f32 v66, v72, v73                             // 0000000053E4: D2A20042 00029348
	v_cvt_pk_fp8_f32 v66, v74, v75 op_sel:[0,0,1]              // 0000000053EC: D2A24042 0002974A
	v_mul_f32_e32 v76, v131, v76                               // 0000000053F4: 0A989983
	v_mul_f32_e32 v77, v131, v77                               // 0000000053F8: 0A9A9B83
	v_mul_f32_e32 v78, v131, v78                               // 0000000053FC: 0A9C9D83
	v_mul_f32_e32 v79, v131, v79                               // 000000005400: 0A9E9F83
	v_cvt_pk_fp8_f32 v67, v76, v77                             // 000000005404: D2A20043 00029B4C
	v_cvt_pk_fp8_f32 v67, v78, v79 op_sel:[0,0,1]              // 00000000540C: D2A24043 00029F4E
	v_mul_f32_e32 v80, v128, v80                               // 000000005414: 0AA0A180
	v_mul_f32_e32 v81, v128, v81                               // 000000005418: 0AA2A380
	v_mul_f32_e32 v82, v128, v82                               // 00000000541C: 0AA4A580
	v_mul_f32_e32 v83, v128, v83                               // 000000005420: 0AA6A780
	v_cvt_pk_fp8_f32 v68, v80, v81                             // 000000005424: D2A20044 0002A350
	v_cvt_pk_fp8_f32 v68, v82, v83 op_sel:[0,0,1]              // 00000000542C: D2A24044 0002A752
	v_mul_f32_e32 v84, v129, v84                               // 000000005434: 0AA8A981
	v_mul_f32_e32 v85, v129, v85                               // 000000005438: 0AAAAB81
	v_mul_f32_e32 v86, v129, v86                               // 00000000543C: 0AACAD81
	v_mul_f32_e32 v87, v129, v87                               // 000000005440: 0AAEAF81
	v_cvt_pk_fp8_f32 v69, v84, v85                             // 000000005444: D2A20045 0002AB54
	v_cvt_pk_fp8_f32 v69, v86, v87 op_sel:[0,0,1]              // 00000000544C: D2A24045 0002AF56
	v_mul_f32_e32 v88, v130, v88                               // 000000005454: 0AB0B182
	v_mul_f32_e32 v89, v130, v89                               // 000000005458: 0AB2B382
	v_mul_f32_e32 v90, v130, v90                               // 00000000545C: 0AB4B582
	v_mul_f32_e32 v91, v130, v91                               // 000000005460: 0AB6B782
	v_cvt_pk_fp8_f32 v70, v88, v89                             // 000000005464: D2A20046 0002B358
	v_cvt_pk_fp8_f32 v70, v90, v91 op_sel:[0,0,1]              // 00000000546C: D2A24046 0002B75A
	v_mul_f32_e32 v92, v131, v92                               // 000000005474: 0AB8B983
	v_mul_f32_e32 v93, v131, v93                               // 000000005478: 0ABABB83
	v_mul_f32_e32 v94, v131, v94                               // 00000000547C: 0ABCBD83
	v_mul_f32_e32 v95, v131, v95                               // 000000005480: 0ABEBF83
	v_cvt_pk_fp8_f32 v71, v92, v93                             // 000000005484: D2A20047 0002BB5C
	v_cvt_pk_fp8_f32 v71, v94, v95 op_sel:[0,0,1]              // 00000000548C: D2A24047 0002BF5E
	v_rcp_f32_e32 v21, v128                                    // 000000005494: 7E2A4580
	v_rcp_f32_e32 v22, v129                                    // 000000005498: 7E2C4581
	v_rcp_f32_e32 v23, v130                                    // 00000000549C: 7E2E4582
	v_rcp_f32_e32 v24, v131                                    // 0000000054A0: 7E304583
	v_lshrrev_b32_e32 v58, 5, v0                               // 0000000054A4: 20740085
	v_lshlrev_b32_e32 v59, 6, v58                              // 0000000054A8: 24767486
	v_and_b32_e32 v58, 31, v0                                  // 0000000054AC: 2674009F
	v_lshrrev_b32_e32 v60, 4, v58                              // 0000000054B0: 20787484
	v_add_u32_e32 v59, v60, v59                                // 0000000054B4: 6876773C
	v_and_b32_e32 v58, 15, v0                                  // 0000000054B8: 2674008F
	v_lshlrev_b32_e32 v58, 1, v58                              // 0000000054BC: 24747481
	v_add_u32_e32 v59, v58, v59                                // 0000000054C0: 6876773A
	v_lshlrev_b32_e32 v58, 2, v59                              // 0000000054C4: 24747682
	s_mov_b32 s56, 0                                           // 0000000054C8: BEB80080
	s_lshr_b32 s57, s7, 1                                      // 0000000054CC: 8F398107
	s_mul_i32 s57, s57, 0x200                                  // 0000000054D0: 9239FF39 00000200
	s_add_u32 s56, s57, s56                                    // 0000000054D8: 80383839
	s_and_b32 s57, s7, 1                                       // 0000000054DC: 86398107
	s_mul_i32 s57, s57, 0x80                                   // 0000000054E0: 9239FF39 00000080
	s_add_u32 s56, s57, s56                                    // 0000000054E8: 80383839
	v_add_u32_e64 v58, v58, s56                                // 0000000054EC: D134003A 0000713A
	ds_write_b32 v58, v64 offset:41984                         // 0000000054F4: D81AA400 0000403A
	ds_write_b32 v58, v65 offset:44032                         // 0000000054FC: D81AAC00 0000413A
	ds_write_b32 v58, v66 offset:46080                         // 000000005504: D81AB400 0000423A
	ds_write_b32 v58, v67 offset:48128                         // 00000000550C: D81ABC00 0000433A
	ds_write_b32 v58, v68 offset:43008                         // 000000005514: D81AA800 0000443A
	ds_write_b32 v58, v69 offset:45056                         // 00000000551C: D81AB000 0000453A
	ds_write_b32 v58, v70 offset:47104                         // 000000005524: D81AB800 0000463A
	ds_write_b32 v58, v71 offset:49152                         // 00000000552C: D81AC000 0000473A
	s_waitcnt lgkmcnt(0)                                       // 000000005534: BF8CC07F
	s_barrier                                                  // 000000005538: BF8A0000
	v_and_b32_e32 v58, 31, v0                                  // 00000000553C: 2674009F
	v_lshrrev_b32_e32 v58, 4, v58                              // 000000005540: 20747484
	v_lshlrev_b32_e32 v59, 5, v58                              // 000000005544: 24767485
	v_lshrrev_b32_e32 v58, 5, v0                               // 000000005548: 20740085
	v_lshlrev_b32_e32 v58, 7, v58                              // 00000000554C: 24747487
	v_add_u32_e32 v59, v58, v59                                // 000000005550: 6876773A
	v_and_b32_e32 v58, 15, v0                                  // 000000005554: 2674008F
	v_lshlrev_b32_e32 v58, 1, v58                              // 000000005558: 24747481
	v_add_u32_e32 v59, v58, v59                                // 00000000555C: 6876773A
	v_lshlrev_b32_e32 v58, 2, v59                              // 000000005560: 24747682
	ds_read_b64 a[64:65], v58 offset:41984                     // 000000005564: DAECA400 4000003A
	ds_read_b64 a[66:67], v58 offset:42240                     // 00000000556C: DAECA500 4200003A
	ds_read_b64 a[68:69], v58 offset:43008                     // 000000005574: DAECA800 4400003A
	ds_read_b64 a[70:71], v58 offset:43264                     // 00000000557C: DAECA900 4600003A
	ds_read_b64 a[72:73], v58 offset:44032                     // 000000005584: DAECAC00 4800003A
	ds_read_b64 a[74:75], v58 offset:44288                     // 00000000558C: DAECAD00 4A00003A
	ds_read_b64 a[76:77], v58 offset:45056                     // 000000005594: DAECB000 4C00003A
	ds_read_b64 a[78:79], v58 offset:45312                     // 00000000559C: DAECB100 4E00003A
	ds_read_b64 a[80:81], v58 offset:46080                     // 0000000055A4: DAECB400 5000003A
	ds_read_b64 a[82:83], v58 offset:46336                     // 0000000055AC: DAECB500 5200003A
	ds_read_b64 a[84:85], v58 offset:47104                     // 0000000055B4: DAECB800 5400003A
	ds_read_b64 a[86:87], v58 offset:47360                     // 0000000055BC: DAECB900 5600003A
	ds_read_b64 a[88:89], v58 offset:48128                     // 0000000055C4: DAECBC00 5800003A
	ds_read_b64 a[90:91], v58 offset:48384                     // 0000000055CC: DAECBD00 5A00003A
	ds_read_b64 a[92:93], v58 offset:49152                     // 0000000055D4: DAECC000 5C00003A
	ds_read_b64 a[94:95], v58 offset:49408                     // 0000000055DC: DAECC100 5E00003A
	v_lshlrev_b32_e32 v58, 2, v0                               // 0000000055E4: 24740082
	s_mul_i32 s56, s78, s67                                    // 0000000055E8: 9238434E
	v_add_u32_e64 v96, v58, s56                                // 0000000055EC: D1340060 0000713A
	v_mov_b32_e32 v97, 0                                       // 0000000055F4: 7EC20280
	s_mul_i32 s56, s79, s67                                    // 0000000055F8: 9238434F
	v_add_u32_e64 v98, v58, s56                                // 0000000055FC: D1340062 0000713A
	v_mov_b32_e32 v99, 0                                       // 000000005604: 7EC60280
	s_mul_i32 s56, s80, s67                                    // 000000005608: 92384350
	v_add_u32_e64 v100, v58, s56                               // 00000000560C: D1340064 0000713A
	v_mov_b32_e32 v101, 0                                      // 000000005614: 7ECA0280
	s_mul_i32 s56, s81, s67                                    // 000000005618: 92384351
	v_add_u32_e64 v102, v58, s56                               // 00000000561C: D1340066 0000713A
	v_mov_b32_e32 v103, 0                                      // 000000005624: 7ECE0280
	s_mul_i32 s56, s82, s67                                    // 000000005628: 92384352
	v_add_u32_e64 v104, v58, s56                               // 00000000562C: D1340068 0000713A
	v_mov_b32_e32 v105, 0                                      // 000000005634: 7ED20280
	s_mul_i32 s56, s83, s67                                    // 000000005638: 92384353
	v_add_u32_e64 v106, v58, s56                               // 00000000563C: D134006A 0000713A
	v_mov_b32_e32 v107, 0                                      // 000000005644: 7ED60280
	s_mul_i32 s56, s84, s67                                    // 000000005648: 92384354
	v_add_u32_e64 v108, v58, s56                               // 00000000564C: D134006C 0000713A
	v_mov_b32_e32 v109, 0                                      // 000000005654: 7EDA0280
	s_mul_i32 s56, s85, s67                                    // 000000005658: 92384355
	v_add_u32_e64 v110, v58, s56                               // 00000000565C: D134006E 0000713A
	v_mov_b32_e32 v111, 0                                      // 000000005664: 7EDE0280
	s_mul_i32 s56, s86, s67                                    // 000000005668: 92384356
	v_add_u32_e64 v112, v58, s56                               // 00000000566C: D1340070 0000713A
	v_mov_b32_e32 v113, 0                                      // 000000005674: 7EE20280
	s_mul_i32 s56, s87, s67                                    // 000000005678: 92384357
	v_add_u32_e64 v114, v58, s56                               // 00000000567C: D1340072 0000713A
	v_mov_b32_e32 v115, 0                                      // 000000005684: 7EE60280
	s_mul_i32 s56, s88, s67                                    // 000000005688: 92384358
	v_add_u32_e64 v116, v58, s56                               // 00000000568C: D1340074 0000713A
	v_mov_b32_e32 v117, 0                                      // 000000005694: 7EEA0280
	s_mul_i32 s56, s89, s67                                    // 000000005698: 92384359
	v_add_u32_e64 v118, v58, s56                               // 00000000569C: D1340076 0000713A
	v_mov_b32_e32 v119, 0                                      // 0000000056A4: 7EEE0280
	s_mul_i32 s56, s90, s67                                    // 0000000056A8: 9238435A
	v_add_u32_e64 v120, v58, s56                               // 0000000056AC: D1340078 0000713A
	v_mov_b32_e32 v121, 0                                      // 0000000056B4: 7EF20280
	s_mul_i32 s56, s91, s67                                    // 0000000056B8: 9238435B
	v_add_u32_e64 v122, v58, s56                               // 0000000056BC: D134007A 0000713A
	v_mov_b32_e32 v123, 0                                      // 0000000056C4: 7EF60280
	s_mul_i32 s56, s92, s67                                    // 0000000056C8: 9238435C
	v_add_u32_e64 v124, v58, s56                               // 0000000056CC: D134007C 0000713A
	v_mov_b32_e32 v125, 0                                      // 0000000056D4: 7EFA0280
	s_mul_i32 s56, s93, s67                                    // 0000000056D8: 9238435D
	v_add_u32_e64 v126, v58, s56                               // 0000000056DC: D134007E 0000713A
	v_mov_b32_e32 v127, 0                                      // 0000000056E4: 7EFE0280
	s_add_u32 s12, s52, s12                                    // 0000000056E8: 800C0C34
	s_addc_u32 s13, 0, s13                                     // 0000000056EC: 820D0D80
	s_add_u32 s16, s75, s16                                    // 0000000056F0: 8010104B
	s_addc_u32 s17, 0, s17                                     // 0000000056F4: 82111180
	s_mov_b32 s76, 0                                           // 0000000056F8: BECC0080
	s_waitcnt vmcnt(0) expcnt(0) lgkmcnt(0)                    // 0000000056FC: BF8C0000

0000000000005700 <label_0A40>:
	s_waitcnt vmcnt(4)                                         // 000000005700: BF8C0F74
	s_barrier                                                  // 000000005704: BF8A0000
	v_mfma_f32_16x16x128_f8f6f4 v[128:131], a[0:7], a[64:71], 0// 000000005708: D3AD0080 1A028100
	v_mfma_f32_16x16x128_f8f6f4 v[132:135], a[0:7], a[72:79], 0// 000000005710: D3AD0084 1A029100
	buffer_load_dwordx4 a[32:35], v49, s[12:15], 0 offen       // 000000005718: E05C1000 80832031
	buffer_load_dwordx4 a[36:39], v49, s[12:15], 0 offen offset:1024// 000000005720: E05C1400 80832431
	v_mfma_f32_16x16x128_f8f6f4 v[136:139], a[0:7], a[80:87], 0// 000000005728: D3AD0088 1A02A100
	v_mfma_f32_16x16x128_f8f6f4 v[140:143], a[0:7], a[88:95], 0// 000000005730: D3AD008C 1A02B100
	buffer_load_dwordx4 a[40:43], v50, s[12:15], 0 offen       // 000000005738: E05C1000 80832832
	buffer_load_dwordx4 a[44:47], v50, s[12:15], 0 offen offset:1024// 000000005740: E05C1400 80832C32
	buffer_load_dword v38, v8, s[16:19], 0 offen               // 000000005748: E0501000 80042608
	s_waitcnt vmcnt(5)                                         // 000000005750: BF8C0F75
	v_mfma_f32_16x16x128_f8f6f4 v[144:147], a[8:15], a[64:71], 0// 000000005754: D3AD0090 1A028108
	v_mfma_f32_16x16x128_f8f6f4 v[148:151], a[8:15], a[72:79], 0// 00000000575C: D3AD0094 1A029108
	buffer_load_dwordx4 a[48:51], v51, s[12:15], 0 offen       // 000000005764: E05C1000 80833033
	buffer_load_dwordx4 a[52:55], v51, s[12:15], 0 offen offset:1024// 00000000576C: E05C1400 80833433
	v_mfma_f32_16x16x128_f8f6f4 v[152:155], a[8:15], a[80:87], 0// 000000005774: D3AD0098 1A02A108
	v_mfma_f32_16x16x128_f8f6f4 v[156:159], a[8:15], a[88:95], 0// 00000000577C: D3AD009C 1A02B108
	buffer_load_dwordx4 a[56:59], v52, s[12:15], 0 offen       // 000000005784: E05C1000 80833834
	buffer_load_dwordx4 a[60:63], v52, s[12:15], 0 offen offset:1024// 00000000578C: E05C1400 80833C34
	s_waitcnt vmcnt(5)                                         // 000000005794: BF8C0F75
	v_mfma_f32_16x16x128_f8f6f4 v[160:163], a[16:23], a[64:71], 0// 000000005798: D3AD00A0 1A028110
	v_mfma_f32_16x16x128_f8f6f4 v[164:167], a[16:23], a[72:79], 0// 0000000057A0: D3AD00A4 1A029110
	v_mfma_f32_16x16x128_f8f6f4 v[168:171], a[16:23], a[80:87], 0// 0000000057A8: D3AD00A8 1A02A110
	v_mfma_f32_16x16x128_f8f6f4 v[172:175], a[16:23], a[88:95], 0// 0000000057B0: D3AD00AC 1A02B110
	s_waitcnt vmcnt(5)                                         // 0000000057B8: BF8C0F75
	v_mfma_f32_16x16x128_f8f6f4 v[176:179], a[24:31], a[64:71], 0// 0000000057BC: D3AD00B0 1A028118
	v_mfma_f32_16x16x128_f8f6f4 v[180:183], a[24:31], a[72:79], 0// 0000000057C4: D3AD00B4 1A029118
	v_mfma_f32_16x16x128_f8f6f4 v[184:187], a[24:31], a[80:87], 0// 0000000057CC: D3AD00B8 1A02A118
	v_mfma_f32_16x16x128_f8f6f4 v[188:191], a[24:31], a[88:95], 0// 0000000057D4: D3AD00BC 1A02B118
	v_mul_f32_dpp v58, v37, v21 row_newbcast:0 row_mask:0xf bank_mask:0xf// 0000000057DC: 0A742AFA FF015025
	v_mov_b32_e32 v59, v58                                     // 0000000057E4: 7E76033A
	v_pk_mul_f32 v[128:129], v[58:59], v[128:129]              // 0000000057E8: D3B14080 1803013A
	v_pk_mul_f32 v[130:131], v[58:59], v[130:131]              // 0000000057F0: D3B14082 1803053A
	v_pk_mul_f32 v[144:145], v[58:59], v[144:145]              // 0000000057F8: D3B14090 1803213A
	v_pk_mul_f32 v[146:147], v[58:59], v[146:147]              // 000000005800: D3B14092 1803253A
	v_mul_f32_dpp v58, v37, v21 row_newbcast:1 row_mask:0xf bank_mask:0xf// 000000005808: 0A742AFA FF015125
	v_mov_b32_e32 v59, v58                                     // 000000005810: 7E76033A
	v_pk_mul_f32 v[160:161], v[58:59], v[160:161]              // 000000005814: D3B140A0 1803413A
	v_pk_mul_f32 v[162:163], v[58:59], v[162:163]              // 00000000581C: D3B140A2 1803453A
	v_pk_mul_f32 v[176:177], v[58:59], v[176:177]              // 000000005824: D3B140B0 1803613A
	v_pk_mul_f32 v[178:179], v[58:59], v[178:179]              // 00000000582C: D3B140B2 1803653A
	v_mul_f32_dpp v58, v37, v22 row_newbcast:0 row_mask:0xf bank_mask:0xf// 000000005834: 0A742CFA FF015025
	v_mov_b32_e32 v59, v58                                     // 00000000583C: 7E76033A
	v_pk_mul_f32 v[132:133], v[58:59], v[132:133]              // 000000005840: D3B14084 1803093A
	v_pk_mul_f32 v[134:135], v[58:59], v[134:135]              // 000000005848: D3B14086 18030D3A
	v_pk_mul_f32 v[148:149], v[58:59], v[148:149]              // 000000005850: D3B14094 1803293A
	v_pk_mul_f32 v[150:151], v[58:59], v[150:151]              // 000000005858: D3B14096 18032D3A
	v_mul_f32_dpp v58, v37, v22 row_newbcast:1 row_mask:0xf bank_mask:0xf// 000000005860: 0A742CFA FF015125
	v_mov_b32_e32 v59, v58                                     // 000000005868: 7E76033A
	v_pk_mul_f32 v[164:165], v[58:59], v[164:165]              // 00000000586C: D3B140A4 1803493A
	v_pk_mul_f32 v[166:167], v[58:59], v[166:167]              // 000000005874: D3B140A6 18034D3A
	v_pk_mul_f32 v[180:181], v[58:59], v[180:181]              // 00000000587C: D3B140B4 1803693A
	v_pk_mul_f32 v[182:183], v[58:59], v[182:183]              // 000000005884: D3B140B6 18036D3A
	v_mul_f32_dpp v58, v37, v23 row_newbcast:0 row_mask:0xf bank_mask:0xf// 00000000588C: 0A742EFA FF015025
	v_mov_b32_e32 v59, v58                                     // 000000005894: 7E76033A
	v_pk_mul_f32 v[136:137], v[58:59], v[136:137]              // 000000005898: D3B14088 1803113A
	v_pk_mul_f32 v[138:139], v[58:59], v[138:139]              // 0000000058A0: D3B1408A 1803153A
	v_pk_mul_f32 v[152:153], v[58:59], v[152:153]              // 0000000058A8: D3B14098 1803313A
	v_pk_mul_f32 v[154:155], v[58:59], v[154:155]              // 0000000058B0: D3B1409A 1803353A
	v_mul_f32_dpp v58, v37, v23 row_newbcast:1 row_mask:0xf bank_mask:0xf// 0000000058B8: 0A742EFA FF015125
	v_mov_b32_e32 v59, v58                                     // 0000000058C0: 7E76033A
	v_pk_mul_f32 v[168:169], v[58:59], v[168:169]              // 0000000058C4: D3B140A8 1803513A
	v_pk_mul_f32 v[170:171], v[58:59], v[170:171]              // 0000000058CC: D3B140AA 1803553A
	v_pk_mul_f32 v[184:185], v[58:59], v[184:185]              // 0000000058D4: D3B140B8 1803713A
	v_pk_mul_f32 v[186:187], v[58:59], v[186:187]              // 0000000058DC: D3B140BA 1803753A
	v_mul_f32_dpp v58, v37, v24 row_newbcast:0 row_mask:0xf bank_mask:0xf// 0000000058E4: 0A7430FA FF015025
	v_mov_b32_e32 v59, v58                                     // 0000000058EC: 7E76033A
	v_pk_mul_f32 v[140:141], v[58:59], v[140:141]              // 0000000058F0: D3B1408C 1803193A
	v_pk_mul_f32 v[142:143], v[58:59], v[142:143]              // 0000000058F8: D3B1408E 18031D3A
	v_pk_mul_f32 v[156:157], v[58:59], v[156:157]              // 000000005900: D3B1409C 1803393A
	v_pk_mul_f32 v[158:159], v[58:59], v[158:159]              // 000000005908: D3B1409E 18033D3A
	v_mul_f32_dpp v58, v37, v24 row_newbcast:1 row_mask:0xf bank_mask:0xf// 000000005910: 0A7430FA FF015125
	v_mov_b32_e32 v59, v58                                     // 000000005918: 7E76033A
	v_pk_mul_f32 v[172:173], v[58:59], v[172:173]              // 00000000591C: D3B140AC 1803593A
	v_pk_mul_f32 v[174:175], v[58:59], v[174:175]              // 000000005924: D3B140AE 18035D3A
	v_pk_mul_f32 v[188:189], v[58:59], v[188:189]              // 00000000592C: D3B140BC 1803793A
	v_pk_mul_f32 v[190:191], v[58:59], v[190:191]              // 000000005934: D3B140BE 18037D3A
	s_add_u32 s56, 0x200, s76                                  // 00000000593C: 80384CFF 00000200
	s_cmp_lt_u32 s56, s77                                      // 000000005944: BF0A4D38
	s_cselect_b32 s52, s52, 0                                  // 000000005948: 85348034
	s_cselect_b32 s74, s74, 0                                  // 00000000594C: 854A804A
	s_cselect_b32 s75, s75, 0                                  // 000000005950: 854B804B
	s_add_u32 s12, s52, s12                                    // 000000005954: 800C0C34
	s_addc_u32 s13, 0, s13                                     // 000000005958: 820D0D80
	s_add_u32 s16, s75, s16                                    // 00000000595C: 8010104B
	s_addc_u32 s17, 0, s17                                     // 000000005960: 82111180
	v_mov_b32_e32 v58, v39                                     // 000000005964: 7E740327
	v_mov_b32_e32 v59, v39                                     // 000000005968: 7E760327
	v_pk_mul_f32 v[128:129], v[58:59], v[128:129]              // 00000000596C: D3B14080 1803013A
	v_pk_mul_f32 v[130:131], v[58:59], v[130:131]              // 000000005974: D3B14082 1803053A
	v_pk_mul_f32 v[144:145], v[58:59], v[144:145]              // 00000000597C: D3B14090 1803213A
	v_pk_mul_f32 v[146:147], v[58:59], v[146:147]              // 000000005984: D3B14092 1803253A
	v_pk_mul_f32 v[160:161], v[58:59], v[160:161]              // 00000000598C: D3B140A0 1803413A
	v_pk_mul_f32 v[162:163], v[58:59], v[162:163]              // 000000005994: D3B140A2 1803453A
	v_pk_mul_f32 v[176:177], v[58:59], v[176:177]              // 00000000599C: D3B140B0 1803613A
	v_pk_mul_f32 v[178:179], v[58:59], v[178:179]              // 0000000059A4: D3B140B2 1803653A
	v_mov_b32_e32 v58, v40                                     // 0000000059AC: 7E740328
	v_mov_b32_e32 v59, v40                                     // 0000000059B0: 7E760328
	v_pk_mul_f32 v[132:133], v[58:59], v[132:133]              // 0000000059B4: D3B14084 1803093A
	v_pk_mul_f32 v[134:135], v[58:59], v[134:135]              // 0000000059BC: D3B14086 18030D3A
	v_pk_mul_f32 v[148:149], v[58:59], v[148:149]              // 0000000059C4: D3B14094 1803293A
	v_pk_mul_f32 v[150:151], v[58:59], v[150:151]              // 0000000059CC: D3B14096 18032D3A
	v_pk_mul_f32 v[164:165], v[58:59], v[164:165]              // 0000000059D4: D3B140A4 1803493A
	v_pk_mul_f32 v[166:167], v[58:59], v[166:167]              // 0000000059DC: D3B140A6 18034D3A
	v_pk_mul_f32 v[180:181], v[58:59], v[180:181]              // 0000000059E4: D3B140B4 1803693A
	v_pk_mul_f32 v[182:183], v[58:59], v[182:183]              // 0000000059EC: D3B140B6 18036D3A
	v_mov_b32_e32 v58, v41                                     // 0000000059F4: 7E740329
	v_mov_b32_e32 v59, v41                                     // 0000000059F8: 7E760329
	v_pk_mul_f32 v[136:137], v[58:59], v[136:137]              // 0000000059FC: D3B14088 1803113A
	v_pk_mul_f32 v[138:139], v[58:59], v[138:139]              // 000000005A04: D3B1408A 1803153A
	v_pk_mul_f32 v[152:153], v[58:59], v[152:153]              // 000000005A0C: D3B14098 1803313A
	v_pk_mul_f32 v[154:155], v[58:59], v[154:155]              // 000000005A14: D3B1409A 1803353A
	v_pk_mul_f32 v[168:169], v[58:59], v[168:169]              // 000000005A1C: D3B140A8 1803513A
	v_pk_mul_f32 v[170:171], v[58:59], v[170:171]              // 000000005A24: D3B140AA 1803553A
	v_pk_mul_f32 v[184:185], v[58:59], v[184:185]              // 000000005A2C: D3B140B8 1803713A
	v_pk_mul_f32 v[186:187], v[58:59], v[186:187]              // 000000005A34: D3B140BA 1803753A
	v_mov_b32_e32 v58, v42                                     // 000000005A3C: 7E74032A
	v_mov_b32_e32 v59, v42                                     // 000000005A40: 7E76032A
	v_pk_mul_f32 v[140:141], v[58:59], v[140:141]              // 000000005A44: D3B1408C 1803193A
	v_pk_mul_f32 v[142:143], v[58:59], v[142:143]              // 000000005A4C: D3B1408E 18031D3A
	v_pk_mul_f32 v[156:157], v[58:59], v[156:157]              // 000000005A54: D3B1409C 1803393A
	v_pk_mul_f32 v[158:159], v[58:59], v[158:159]              // 000000005A5C: D3B1409E 18033D3A
	v_pk_mul_f32 v[172:173], v[58:59], v[172:173]              // 000000005A64: D3B140AC 1803593A
	v_pk_mul_f32 v[174:175], v[58:59], v[174:175]              // 000000005A6C: D3B140AE 18035D3A
	v_pk_mul_f32 v[188:189], v[58:59], v[188:189]              // 000000005A74: D3B140BC 1803793A
	v_pk_mul_f32 v[190:191], v[58:59], v[190:191]              // 000000005A7C: D3B140BE 18037D3A
	v_cvt_pk_bf16_f32 v128, v128, v129                         // 000000005A84: D2680080 00030380
	v_cvt_pk_bf16_f32 v129, v130, v131                         // 000000005A8C: D2680081 00030782
	v_cvt_pk_bf16_f32 v130, v132, v133                         // 000000005A94: D2680082 00030B84
	v_cvt_pk_bf16_f32 v131, v134, v135                         // 000000005A9C: D2680083 00030F86
	v_cvt_pk_bf16_f32 v132, v136, v137                         // 000000005AA4: D2680084 00031388
	v_cvt_pk_bf16_f32 v133, v138, v139                         // 000000005AAC: D2680085 0003178A
	v_cvt_pk_bf16_f32 v134, v140, v141                         // 000000005AB4: D2680086 00031B8C
	v_cvt_pk_bf16_f32 v135, v142, v143                         // 000000005ABC: D2680087 00031F8E
	v_cvt_pk_bf16_f32 v136, v144, v145                         // 000000005AC4: D2680088 00032390
	v_cvt_pk_bf16_f32 v137, v146, v147                         // 000000005ACC: D2680089 00032792
	v_cvt_pk_bf16_f32 v138, v148, v149                         // 000000005AD4: D268008A 00032B94
	v_cvt_pk_bf16_f32 v139, v150, v151                         // 000000005ADC: D268008B 00032F96
	v_cvt_pk_bf16_f32 v140, v152, v153                         // 000000005AE4: D268008C 00033398
	v_cvt_pk_bf16_f32 v141, v154, v155                         // 000000005AEC: D268008D 0003379A
	v_cvt_pk_bf16_f32 v142, v156, v157                         // 000000005AF4: D268008E 00033B9C
	v_cvt_pk_bf16_f32 v143, v158, v159                         // 000000005AFC: D268008F 00033F9E
	v_cvt_pk_bf16_f32 v144, v160, v161                         // 000000005B04: D2680090 000343A0
	v_cvt_pk_bf16_f32 v145, v162, v163                         // 000000005B0C: D2680091 000347A2
	v_cvt_pk_bf16_f32 v146, v164, v165                         // 000000005B14: D2680092 00034BA4
	v_cvt_pk_bf16_f32 v147, v166, v167                         // 000000005B1C: D2680093 00034FA6
	v_cvt_pk_bf16_f32 v148, v168, v169                         // 000000005B24: D2680094 000353A8
	v_cvt_pk_bf16_f32 v149, v170, v171                         // 000000005B2C: D2680095 000357AA
	v_cvt_pk_bf16_f32 v150, v172, v173                         // 000000005B34: D2680096 00035BAC
	v_cvt_pk_bf16_f32 v151, v174, v175                         // 000000005B3C: D2680097 00035FAE
	v_cvt_pk_bf16_f32 v152, v176, v177                         // 000000005B44: D2680098 000363B0
	v_cvt_pk_bf16_f32 v153, v178, v179                         // 000000005B4C: D2680099 000367B2
	v_cvt_pk_bf16_f32 v154, v180, v181                         // 000000005B54: D268009A 00036BB4
	v_cvt_pk_bf16_f32 v155, v182, v183                         // 000000005B5C: D268009B 00036FB6
	v_cvt_pk_bf16_f32 v156, v184, v185                         // 000000005B64: D268009C 000373B8
	v_cvt_pk_bf16_f32 v157, v186, v187                         // 000000005B6C: D268009D 000377BA
	v_cvt_pk_bf16_f32 v158, v188, v189                         // 000000005B74: D268009E 00037BBC
	v_cvt_pk_bf16_f32 v159, v190, v191                         // 000000005B7C: D268009F 00037FBE
	ds_write_b64 v4, v[128:129]                                // 000000005B84: D89A0000 00008004
	ds_write_b64 v4, v[130:131] offset:8704                    // 000000005B8C: D89A2200 00008204
	ds_write_b64 v5, v[132:133]                                // 000000005B94: D89A0000 00008405
	ds_write_b64 v5, v[134:135] offset:8704                    // 000000005B9C: D89A2200 00008605
	ds_write_b64 v4, v[136:137] offset:2176                    // 000000005BA4: D89A0880 00008804
	ds_write_b64 v4, v[138:139] offset:10880                   // 000000005BAC: D89A2A80 00008A04
	ds_write_b64 v5, v[140:141] offset:2176                    // 000000005BB4: D89A0880 00008C05
	ds_write_b64 v5, v[142:143] offset:10880                   // 000000005BBC: D89A2A80 00008E05
	ds_write_b64 v4, v[144:145] offset:4352                    // 000000005BC4: D89A1100 00009004
	ds_write_b64 v4, v[146:147] offset:13056                   // 000000005BCC: D89A3300 00009204
	ds_write_b64 v5, v[148:149] offset:4352                    // 000000005BD4: D89A1100 00009405
	ds_write_b64 v5, v[150:151] offset:13056                   // 000000005BDC: D89A3300 00009605
	ds_write_b64 v4, v[152:153] offset:6528                    // 000000005BE4: D89A1980 00009804
	ds_write_b64 v4, v[154:155] offset:15232                   // 000000005BEC: D89A3B80 00009A04
	ds_write_b64 v5, v[156:157] offset:6528                    // 000000005BF4: D89A1980 00009C05
	ds_write_b64 v5, v[158:159] offset:15232                   // 000000005BFC: D89A3B80 00009E05
	s_waitcnt lgkmcnt(0)                                       // 000000005C04: BF8CC07F
	s_barrier                                                  // 000000005C08: BF8A0000
	ds_read_b32 v64, v6                                        // 000000005C0C: D86C0000 40000006
	ds_read_b32 v65, v6 offset:4352                            // 000000005C14: D86C1100 41000006
	ds_read_b32 v66, v6 offset:8                               // 000000005C1C: D86C0008 42000006
	ds_read_b32 v67, v6 offset:4360                            // 000000005C24: D86C1108 43000006
	ds_read_b32 v68, v6 offset:32                              // 000000005C2C: D86C0020 44000006
	ds_read_b32 v69, v6 offset:4384                            // 000000005C34: D86C1120 45000006
	ds_read_b32 v70, v6 offset:40                              // 000000005C3C: D86C0028 46000006
	ds_read_b32 v71, v6 offset:4392                            // 000000005C44: D86C1128 47000006
	ds_read_b32 v72, v6 offset:8704                            // 000000005C4C: D86C2200 48000006
	ds_read_b32 v73, v6 offset:13056                           // 000000005C54: D86C3300 49000006
	ds_read_b32 v74, v6 offset:8712                            // 000000005C5C: D86C2208 4A000006
	ds_read_b32 v75, v6 offset:13064                           // 000000005C64: D86C3308 4B000006
	ds_read_b32 v76, v6 offset:8736                            // 000000005C6C: D86C2220 4C000006
	ds_read_b32 v77, v6 offset:13088                           // 000000005C74: D86C3320 4D000006
	ds_read_b32 v78, v6 offset:8744                            // 000000005C7C: D86C2228 4E000006
	ds_read_b32 v79, v6 offset:13096                           // 000000005C84: D86C3328 4F000006
	ds_read_b32 v80, v7                                        // 000000005C8C: D86C0000 50000007
	ds_read_b32 v81, v7 offset:4352                            // 000000005C94: D86C1100 51000007
	ds_read_b32 v82, v7 offset:8                               // 000000005C9C: D86C0008 52000007
	ds_read_b32 v83, v7 offset:4360                            // 000000005CA4: D86C1108 53000007
	ds_read_b32 v84, v7 offset:32                              // 000000005CAC: D86C0020 54000007
	ds_read_b32 v85, v7 offset:4384                            // 000000005CB4: D86C1120 55000007
	ds_read_b32 v86, v7 offset:40                              // 000000005CBC: D86C0028 56000007
	ds_read_b32 v87, v7 offset:4392                            // 000000005CC4: D86C1128 57000007
	ds_read_b32 v88, v7 offset:8704                            // 000000005CCC: D86C2200 58000007
	ds_read_b32 v89, v7 offset:13056                           // 000000005CD4: D86C3300 59000007
	ds_read_b32 v90, v7 offset:8712                            // 000000005CDC: D86C2208 5A000007
	ds_read_b32 v91, v7 offset:13064                           // 000000005CE4: D86C3308 5B000007
	ds_read_b32 v92, v7 offset:8736                            // 000000005CEC: D86C2220 5C000007
	ds_read_b32 v93, v7 offset:13088                           // 000000005CF4: D86C3320 5D000007
	ds_read_b32 v94, v7 offset:8744                            // 000000005CFC: D86C2228 5E000007
	ds_read_b32 v95, v7 offset:13096                           // 000000005D04: D86C3328 5F000007
	s_waitcnt lgkmcnt(0)                                       // 000000005D0C: BF8CC07F
	s_setvskip s20, 0                                          // 000000005D10: BF108014
	global_atomic_pk_add_bf16 v96, v64, s[8:9]                 // 000000005D14: DD488000 00084060
	s_setvskip 0, 0                                            // 000000005D1C: BF108080
	s_setvskip s20, 0                                          // 000000005D20: BF108014
	global_atomic_pk_add_bf16 v96, v65, s[8:9] offset:256      // 000000005D24: DD488100 00084160
	s_setvskip 0, 0                                            // 000000005D2C: BF108080
	s_setvskip s20, 1                                          // 000000005D30: BF108114
	global_atomic_pk_add_bf16 v98, v66, s[8:9]                 // 000000005D34: DD488000 00084262
	s_setvskip 0, 0                                            // 000000005D3C: BF108080
	s_setvskip s20, 1                                          // 000000005D40: BF108114
	global_atomic_pk_add_bf16 v98, v67, s[8:9] offset:256      // 000000005D44: DD488100 00084362
	s_setvskip 0, 0                                            // 000000005D4C: BF108080
	s_setvskip s20, 2                                          // 000000005D50: BF108214
	global_atomic_pk_add_bf16 v100, v68, s[8:9]                // 000000005D54: DD488000 00084464
	s_setvskip 0, 0                                            // 000000005D5C: BF108080
	s_setvskip s20, 2                                          // 000000005D60: BF108214
	global_atomic_pk_add_bf16 v100, v69, s[8:9] offset:256     // 000000005D64: DD488100 00084564
	s_setvskip 0, 0                                            // 000000005D6C: BF108080
	s_setvskip s20, 3                                          // 000000005D70: BF108314
	global_atomic_pk_add_bf16 v102, v70, s[8:9]                // 000000005D74: DD488000 00084666
	s_setvskip 0, 0                                            // 000000005D7C: BF108080
	s_setvskip s20, 3                                          // 000000005D80: BF108314
	global_atomic_pk_add_bf16 v102, v71, s[8:9] offset:256     // 000000005D84: DD488100 00084766
	s_setvskip 0, 0                                            // 000000005D8C: BF108080
	s_setvskip s20, 4                                          // 000000005D90: BF108414
	global_atomic_pk_add_bf16 v104, v72, s[8:9]                // 000000005D94: DD488000 00084868
	s_setvskip 0, 0                                            // 000000005D9C: BF108080
	s_setvskip s20, 4                                          // 000000005DA0: BF108414
	global_atomic_pk_add_bf16 v104, v73, s[8:9] offset:256     // 000000005DA4: DD488100 00084968
	s_setvskip 0, 0                                            // 000000005DAC: BF108080
	s_setvskip s20, 5                                          // 000000005DB0: BF108514
	global_atomic_pk_add_bf16 v106, v74, s[8:9]                // 000000005DB4: DD488000 00084A6A
	s_setvskip 0, 0                                            // 000000005DBC: BF108080
	s_setvskip s20, 5                                          // 000000005DC0: BF108514
	global_atomic_pk_add_bf16 v106, v75, s[8:9] offset:256     // 000000005DC4: DD488100 00084B6A
	s_setvskip 0, 0                                            // 000000005DCC: BF108080
	s_setvskip s20, 6                                          // 000000005DD0: BF108614
	global_atomic_pk_add_bf16 v108, v76, s[8:9]                // 000000005DD4: DD488000 00084C6C
	s_setvskip 0, 0                                            // 000000005DDC: BF108080
	s_setvskip s20, 6                                          // 000000005DE0: BF108614
	global_atomic_pk_add_bf16 v108, v77, s[8:9] offset:256     // 000000005DE4: DD488100 00084D6C
	s_setvskip 0, 0                                            // 000000005DEC: BF108080
	s_setvskip s20, 7                                          // 000000005DF0: BF108714
	global_atomic_pk_add_bf16 v110, v78, s[8:9]                // 000000005DF4: DD488000 00084E6E
	s_setvskip 0, 0                                            // 000000005DFC: BF108080
	s_setvskip s20, 7                                          // 000000005E00: BF108714
	global_atomic_pk_add_bf16 v110, v79, s[8:9] offset:256     // 000000005E04: DD488100 00084F6E
	s_setvskip 0, 0                                            // 000000005E0C: BF108080
	s_setvskip s20, 8                                          // 000000005E10: BF108814
	global_atomic_pk_add_bf16 v112, v80, s[8:9]                // 000000005E14: DD488000 00085070
	s_setvskip 0, 0                                            // 000000005E1C: BF108080
	s_setvskip s20, 8                                          // 000000005E20: BF108814
	global_atomic_pk_add_bf16 v112, v81, s[8:9] offset:256     // 000000005E24: DD488100 00085170
	s_setvskip 0, 0                                            // 000000005E2C: BF108080
	s_setvskip s20, 9                                          // 000000005E30: BF108914
	global_atomic_pk_add_bf16 v114, v82, s[8:9]                // 000000005E34: DD488000 00085272
	s_setvskip 0, 0                                            // 000000005E3C: BF108080
	s_setvskip s20, 9                                          // 000000005E40: BF108914
	global_atomic_pk_add_bf16 v114, v83, s[8:9] offset:256     // 000000005E44: DD488100 00085372
	s_setvskip 0, 0                                            // 000000005E4C: BF108080
	s_setvskip s20, 10                                         // 000000005E50: BF108A14
	global_atomic_pk_add_bf16 v116, v84, s[8:9]                // 000000005E54: DD488000 00085474
	s_setvskip 0, 0                                            // 000000005E5C: BF108080
	s_setvskip s20, 10                                         // 000000005E60: BF108A14
	global_atomic_pk_add_bf16 v116, v85, s[8:9] offset:256     // 000000005E64: DD488100 00085574
	s_setvskip 0, 0                                            // 000000005E6C: BF108080
	s_setvskip s20, 11                                         // 000000005E70: BF108B14
	global_atomic_pk_add_bf16 v118, v86, s[8:9]                // 000000005E74: DD488000 00085676
	s_setvskip 0, 0                                            // 000000005E7C: BF108080
	s_setvskip s20, 11                                         // 000000005E80: BF108B14
	global_atomic_pk_add_bf16 v118, v87, s[8:9] offset:256     // 000000005E84: DD488100 00085776
	s_setvskip 0, 0                                            // 000000005E8C: BF108080
	s_setvskip s20, 12                                         // 000000005E90: BF108C14
	global_atomic_pk_add_bf16 v120, v88, s[8:9]                // 000000005E94: DD488000 00085878
	s_setvskip 0, 0                                            // 000000005E9C: BF108080
	s_setvskip s20, 12                                         // 000000005EA0: BF108C14
	global_atomic_pk_add_bf16 v120, v89, s[8:9] offset:256     // 000000005EA4: DD488100 00085978
	s_setvskip 0, 0                                            // 000000005EAC: BF108080
	s_setvskip s20, 13                                         // 000000005EB0: BF108D14
	global_atomic_pk_add_bf16 v122, v90, s[8:9]                // 000000005EB4: DD488000 00085A7A
	s_setvskip 0, 0                                            // 000000005EBC: BF108080
	s_setvskip s20, 13                                         // 000000005EC0: BF108D14
	global_atomic_pk_add_bf16 v122, v91, s[8:9] offset:256     // 000000005EC4: DD488100 00085B7A
	s_setvskip 0, 0                                            // 000000005ECC: BF108080
	s_setvskip s20, 14                                         // 000000005ED0: BF108E14
	global_atomic_pk_add_bf16 v124, v92, s[8:9]                // 000000005ED4: DD488000 00085C7C
	s_setvskip 0, 0                                            // 000000005EDC: BF108080
	s_setvskip s20, 14                                         // 000000005EE0: BF108E14
	global_atomic_pk_add_bf16 v124, v93, s[8:9] offset:256     // 000000005EE4: DD488100 00085D7C
	s_setvskip 0, 0                                            // 000000005EEC: BF108080
	s_setvskip s20, 15                                         // 000000005EF0: BF108F14
	global_atomic_pk_add_bf16 v126, v94, s[8:9]                // 000000005EF4: DD488000 00085E7E
	s_setvskip 0, 0                                            // 000000005EFC: BF108080
	s_setvskip s20, 15                                         // 000000005F00: BF108F14
	global_atomic_pk_add_bf16 v126, v95, s[8:9] offset:256     // 000000005F04: DD488100 00085F7E
	s_setvskip 0, 0                                            // 000000005F0C: BF108080
	s_add_u32 s8, s55, s8                                      // 000000005F10: 80080837
	s_addc_u32 s9, 0, s9                                       // 000000005F14: 82090980
	s_addk_i32 s76, 0x100                                      // 000000005F18: B74C0100
	s_cmp_lt_i32 s76, s77                                      // 000000005F1C: BF044D4C
	s_cbranch_scc0 label_0E53                                  // 000000005F20: BF84020A
	s_waitcnt vmcnt(4)                                         // 000000005F24: BF8C0F74
	s_barrier                                                  // 000000005F28: BF8A0000
	v_mfma_f32_16x16x128_f8f6f4 v[192:195], a[32:39], a[64:71], 0// 000000005F2C: D3AD00C0 1A028120
	v_mfma_f32_16x16x128_f8f6f4 v[196:199], a[32:39], a[72:79], 0// 000000005F34: D3AD00C4 1A029120
	buffer_load_dwordx4 a[0:3], v49, s[12:15], 0 offen         // 000000005F3C: E05C1000 80830031
	buffer_load_dwordx4 a[4:7], v49, s[12:15], 0 offen offset:1024// 000000005F44: E05C1400 80830431
	v_mfma_f32_16x16x128_f8f6f4 v[200:203], a[32:39], a[80:87], 0// 000000005F4C: D3AD00C8 1A02A120
	v_mfma_f32_16x16x128_f8f6f4 v[204:207], a[32:39], a[88:95], 0// 000000005F54: D3AD00CC 1A02B120
	buffer_load_dwordx4 a[8:11], v50, s[12:15], 0 offen        // 000000005F5C: E05C1000 80830832
	buffer_load_dwordx4 a[12:15], v50, s[12:15], 0 offen offset:1024// 000000005F64: E05C1400 80830C32
	buffer_load_dword v37, v8, s[16:19], 0 offen               // 000000005F6C: E0501000 80042508
	s_waitcnt vmcnt(5)                                         // 000000005F74: BF8C0F75
	v_mfma_f32_16x16x128_f8f6f4 v[208:211], a[40:47], a[64:71], 0// 000000005F78: D3AD00D0 1A028128
	v_mfma_f32_16x16x128_f8f6f4 v[212:215], a[40:47], a[72:79], 0// 000000005F80: D3AD00D4 1A029128
	buffer_load_dwordx4 a[16:19], v51, s[12:15], 0 offen       // 000000005F88: E05C1000 80831033
	buffer_load_dwordx4 a[20:23], v51, s[12:15], 0 offen offset:1024// 000000005F90: E05C1400 80831433
	v_mfma_f32_16x16x128_f8f6f4 v[216:219], a[40:47], a[80:87], 0// 000000005F98: D3AD00D8 1A02A128
	v_mfma_f32_16x16x128_f8f6f4 v[220:223], a[40:47], a[88:95], 0// 000000005FA0: D3AD00DC 1A02B128
	buffer_load_dwordx4 a[24:27], v52, s[12:15], 0 offen       // 000000005FA8: E05C1000 80831834
	buffer_load_dwordx4 a[28:31], v52, s[12:15], 0 offen offset:1024// 000000005FB0: E05C1400 80831C34
	s_waitcnt vmcnt(5)                                         // 000000005FB8: BF8C0F75
	v_mfma_f32_16x16x128_f8f6f4 v[224:227], a[48:55], a[64:71], 0// 000000005FBC: D3AD00E0 1A028130
	v_mfma_f32_16x16x128_f8f6f4 v[228:231], a[48:55], a[72:79], 0// 000000005FC4: D3AD00E4 1A029130
	v_mfma_f32_16x16x128_f8f6f4 v[232:235], a[48:55], a[80:87], 0// 000000005FCC: D3AD00E8 1A02A130
	v_mfma_f32_16x16x128_f8f6f4 v[236:239], a[48:55], a[88:95], 0// 000000005FD4: D3AD00EC 1A02B130
	s_waitcnt vmcnt(5)                                         // 000000005FDC: BF8C0F75
	v_mfma_f32_16x16x128_f8f6f4 v[240:243], a[56:63], a[64:71], 0// 000000005FE0: D3AD00F0 1A028138
	v_mfma_f32_16x16x128_f8f6f4 v[244:247], a[56:63], a[72:79], 0// 000000005FE8: D3AD00F4 1A029138
	v_mfma_f32_16x16x128_f8f6f4 v[248:251], a[56:63], a[80:87], 0// 000000005FF0: D3AD00F8 1A02A138
	v_mfma_f32_16x16x128_f8f6f4 v[252:255], a[56:63], a[88:95], 0// 000000005FF8: D3AD00FC 1A02B138
	v_mul_f32_dpp v58, v38, v21 row_newbcast:0 row_mask:0xf bank_mask:0xf// 000000006000: 0A742AFA FF015026
	v_mov_b32_e32 v59, v58                                     // 000000006008: 7E76033A
	v_pk_mul_f32 v[192:193], v[58:59], v[192:193]              // 00000000600C: D3B140C0 1803813A
	v_pk_mul_f32 v[194:195], v[58:59], v[194:195]              // 000000006014: D3B140C2 1803853A
	v_pk_mul_f32 v[208:209], v[58:59], v[208:209]              // 00000000601C: D3B140D0 1803A13A
	v_pk_mul_f32 v[210:211], v[58:59], v[210:211]              // 000000006024: D3B140D2 1803A53A
	v_mul_f32_dpp v58, v38, v21 row_newbcast:1 row_mask:0xf bank_mask:0xf// 00000000602C: 0A742AFA FF015126
	v_mov_b32_e32 v59, v58                                     // 000000006034: 7E76033A
	v_pk_mul_f32 v[224:225], v[58:59], v[224:225]              // 000000006038: D3B140E0 1803C13A
	v_pk_mul_f32 v[226:227], v[58:59], v[226:227]              // 000000006040: D3B140E2 1803C53A
	v_pk_mul_f32 v[240:241], v[58:59], v[240:241]              // 000000006048: D3B140F0 1803E13A
	v_pk_mul_f32 v[242:243], v[58:59], v[242:243]              // 000000006050: D3B140F2 1803E53A
	v_mul_f32_dpp v58, v38, v22 row_newbcast:0 row_mask:0xf bank_mask:0xf// 000000006058: 0A742CFA FF015026
	v_mov_b32_e32 v59, v58                                     // 000000006060: 7E76033A
	v_pk_mul_f32 v[196:197], v[58:59], v[196:197]              // 000000006064: D3B140C4 1803893A
	v_pk_mul_f32 v[198:199], v[58:59], v[198:199]              // 00000000606C: D3B140C6 18038D3A
	v_pk_mul_f32 v[212:213], v[58:59], v[212:213]              // 000000006074: D3B140D4 1803A93A
	v_pk_mul_f32 v[214:215], v[58:59], v[214:215]              // 00000000607C: D3B140D6 1803AD3A
	v_mul_f32_dpp v58, v38, v22 row_newbcast:1 row_mask:0xf bank_mask:0xf// 000000006084: 0A742CFA FF015126
	v_mov_b32_e32 v59, v58                                     // 00000000608C: 7E76033A
	v_pk_mul_f32 v[228:229], v[58:59], v[228:229]              // 000000006090: D3B140E4 1803C93A
	v_pk_mul_f32 v[230:231], v[58:59], v[230:231]              // 000000006098: D3B140E6 1803CD3A
	v_pk_mul_f32 v[244:245], v[58:59], v[244:245]              // 0000000060A0: D3B140F4 1803E93A
	v_pk_mul_f32 v[246:247], v[58:59], v[246:247]              // 0000000060A8: D3B140F6 1803ED3A
	v_mul_f32_dpp v58, v38, v23 row_newbcast:0 row_mask:0xf bank_mask:0xf// 0000000060B0: 0A742EFA FF015026
	v_mov_b32_e32 v59, v58                                     // 0000000060B8: 7E76033A
	v_pk_mul_f32 v[200:201], v[58:59], v[200:201]              // 0000000060BC: D3B140C8 1803913A
	v_pk_mul_f32 v[202:203], v[58:59], v[202:203]              // 0000000060C4: D3B140CA 1803953A
	v_pk_mul_f32 v[216:217], v[58:59], v[216:217]              // 0000000060CC: D3B140D8 1803B13A
	v_pk_mul_f32 v[218:219], v[58:59], v[218:219]              // 0000000060D4: D3B140DA 1803B53A
	v_mul_f32_dpp v58, v38, v23 row_newbcast:1 row_mask:0xf bank_mask:0xf// 0000000060DC: 0A742EFA FF015126
	v_mov_b32_e32 v59, v58                                     // 0000000060E4: 7E76033A
	v_pk_mul_f32 v[232:233], v[58:59], v[232:233]              // 0000000060E8: D3B140E8 1803D13A
	v_pk_mul_f32 v[234:235], v[58:59], v[234:235]              // 0000000060F0: D3B140EA 1803D53A
	v_pk_mul_f32 v[248:249], v[58:59], v[248:249]              // 0000000060F8: D3B140F8 1803F13A
	v_pk_mul_f32 v[250:251], v[58:59], v[250:251]              // 000000006100: D3B140FA 1803F53A
	v_mul_f32_dpp v58, v38, v24 row_newbcast:0 row_mask:0xf bank_mask:0xf// 000000006108: 0A7430FA FF015026
	v_mov_b32_e32 v59, v58                                     // 000000006110: 7E76033A
	v_pk_mul_f32 v[204:205], v[58:59], v[204:205]              // 000000006114: D3B140CC 1803993A
	v_pk_mul_f32 v[206:207], v[58:59], v[206:207]              // 00000000611C: D3B140CE 18039D3A
	v_pk_mul_f32 v[220:221], v[58:59], v[220:221]              // 000000006124: D3B140DC 1803B93A
	v_pk_mul_f32 v[222:223], v[58:59], v[222:223]              // 00000000612C: D3B140DE 1803BD3A
	v_mul_f32_dpp v58, v38, v24 row_newbcast:1 row_mask:0xf bank_mask:0xf// 000000006134: 0A7430FA FF015126
	v_mov_b32_e32 v59, v58                                     // 00000000613C: 7E76033A
	v_pk_mul_f32 v[236:237], v[58:59], v[236:237]              // 000000006140: D3B140EC 1803D93A
	v_pk_mul_f32 v[238:239], v[58:59], v[238:239]              // 000000006148: D3B140EE 1803DD3A
	v_pk_mul_f32 v[252:253], v[58:59], v[252:253]              // 000000006150: D3B140FC 1803F93A
	v_pk_mul_f32 v[254:255], v[58:59], v[254:255]              // 000000006158: D3B140FE 1803FD3A
	s_add_u32 s56, 0x200, s76                                  // 000000006160: 80384CFF 00000200
	s_cmp_lt_u32 s56, s77                                      // 000000006168: BF0A4D38
	s_cselect_b32 s52, s52, 0                                  // 00000000616C: 85348034
	s_cselect_b32 s74, s74, 0                                  // 000000006170: 854A804A
	s_cselect_b32 s75, s75, 0                                  // 000000006174: 854B804B
	s_add_u32 s12, s52, s12                                    // 000000006178: 800C0C34
	s_addc_u32 s13, 0, s13                                     // 00000000617C: 820D0D80
	s_add_u32 s16, s75, s16                                    // 000000006180: 8010104B
	s_addc_u32 s17, 0, s17                                     // 000000006184: 82111180
	v_mov_b32_e32 v58, v39                                     // 000000006188: 7E740327
	v_mov_b32_e32 v59, v39                                     // 00000000618C: 7E760327
	v_pk_mul_f32 v[192:193], v[58:59], v[192:193]              // 000000006190: D3B140C0 1803813A
	v_pk_mul_f32 v[194:195], v[58:59], v[194:195]              // 000000006198: D3B140C2 1803853A
	v_pk_mul_f32 v[208:209], v[58:59], v[208:209]              // 0000000061A0: D3B140D0 1803A13A
	v_pk_mul_f32 v[210:211], v[58:59], v[210:211]              // 0000000061A8: D3B140D2 1803A53A
	v_pk_mul_f32 v[224:225], v[58:59], v[224:225]              // 0000000061B0: D3B140E0 1803C13A
	v_pk_mul_f32 v[226:227], v[58:59], v[226:227]              // 0000000061B8: D3B140E2 1803C53A
	v_pk_mul_f32 v[240:241], v[58:59], v[240:241]              // 0000000061C0: D3B140F0 1803E13A
	v_pk_mul_f32 v[242:243], v[58:59], v[242:243]              // 0000000061C8: D3B140F2 1803E53A
	v_mov_b32_e32 v58, v40                                     // 0000000061D0: 7E740328
	v_mov_b32_e32 v59, v40                                     // 0000000061D4: 7E760328
	v_pk_mul_f32 v[196:197], v[58:59], v[196:197]              // 0000000061D8: D3B140C4 1803893A
	v_pk_mul_f32 v[198:199], v[58:59], v[198:199]              // 0000000061E0: D3B140C6 18038D3A
	v_pk_mul_f32 v[212:213], v[58:59], v[212:213]              // 0000000061E8: D3B140D4 1803A93A
	v_pk_mul_f32 v[214:215], v[58:59], v[214:215]              // 0000000061F0: D3B140D6 1803AD3A
	v_pk_mul_f32 v[228:229], v[58:59], v[228:229]              // 0000000061F8: D3B140E4 1803C93A
	v_pk_mul_f32 v[230:231], v[58:59], v[230:231]              // 000000006200: D3B140E6 1803CD3A
	v_pk_mul_f32 v[244:245], v[58:59], v[244:245]              // 000000006208: D3B140F4 1803E93A
	v_pk_mul_f32 v[246:247], v[58:59], v[246:247]              // 000000006210: D3B140F6 1803ED3A
	v_mov_b32_e32 v58, v41                                     // 000000006218: 7E740329
	v_mov_b32_e32 v59, v41                                     // 00000000621C: 7E760329
	v_pk_mul_f32 v[200:201], v[58:59], v[200:201]              // 000000006220: D3B140C8 1803913A
	v_pk_mul_f32 v[202:203], v[58:59], v[202:203]              // 000000006228: D3B140CA 1803953A
	v_pk_mul_f32 v[216:217], v[58:59], v[216:217]              // 000000006230: D3B140D8 1803B13A
	v_pk_mul_f32 v[218:219], v[58:59], v[218:219]              // 000000006238: D3B140DA 1803B53A
	v_pk_mul_f32 v[232:233], v[58:59], v[232:233]              // 000000006240: D3B140E8 1803D13A
	v_pk_mul_f32 v[234:235], v[58:59], v[234:235]              // 000000006248: D3B140EA 1803D53A
	v_pk_mul_f32 v[248:249], v[58:59], v[248:249]              // 000000006250: D3B140F8 1803F13A
	v_pk_mul_f32 v[250:251], v[58:59], v[250:251]              // 000000006258: D3B140FA 1803F53A
	v_mov_b32_e32 v58, v42                                     // 000000006260: 7E74032A
	v_mov_b32_e32 v59, v42                                     // 000000006264: 7E76032A
	v_pk_mul_f32 v[204:205], v[58:59], v[204:205]              // 000000006268: D3B140CC 1803993A
	v_pk_mul_f32 v[206:207], v[58:59], v[206:207]              // 000000006270: D3B140CE 18039D3A
	v_pk_mul_f32 v[220:221], v[58:59], v[220:221]              // 000000006278: D3B140DC 1803B93A
	v_pk_mul_f32 v[222:223], v[58:59], v[222:223]              // 000000006280: D3B140DE 1803BD3A
	v_pk_mul_f32 v[236:237], v[58:59], v[236:237]              // 000000006288: D3B140EC 1803D93A
	v_pk_mul_f32 v[238:239], v[58:59], v[238:239]              // 000000006290: D3B140EE 1803DD3A
	v_pk_mul_f32 v[252:253], v[58:59], v[252:253]              // 000000006298: D3B140FC 1803F93A
	v_pk_mul_f32 v[254:255], v[58:59], v[254:255]              // 0000000062A0: D3B140FE 1803FD3A
	v_cvt_pk_bf16_f32 v192, v192, v193                         // 0000000062A8: D26800C0 000383C0
	v_cvt_pk_bf16_f32 v193, v194, v195                         // 0000000062B0: D26800C1 000387C2
	v_cvt_pk_bf16_f32 v194, v196, v197                         // 0000000062B8: D26800C2 00038BC4
	v_cvt_pk_bf16_f32 v195, v198, v199                         // 0000000062C0: D26800C3 00038FC6
	v_cvt_pk_bf16_f32 v196, v200, v201                         // 0000000062C8: D26800C4 000393C8
	v_cvt_pk_bf16_f32 v197, v202, v203                         // 0000000062D0: D26800C5 000397CA
	v_cvt_pk_bf16_f32 v198, v204, v205                         // 0000000062D8: D26800C6 00039BCC
	v_cvt_pk_bf16_f32 v199, v206, v207                         // 0000000062E0: D26800C7 00039FCE
	v_cvt_pk_bf16_f32 v200, v208, v209                         // 0000000062E8: D26800C8 0003A3D0
	v_cvt_pk_bf16_f32 v201, v210, v211                         // 0000000062F0: D26800C9 0003A7D2
	v_cvt_pk_bf16_f32 v202, v212, v213                         // 0000000062F8: D26800CA 0003ABD4
	v_cvt_pk_bf16_f32 v203, v214, v215                         // 000000006300: D26800CB 0003AFD6
	v_cvt_pk_bf16_f32 v204, v216, v217                         // 000000006308: D26800CC 0003B3D8
	v_cvt_pk_bf16_f32 v205, v218, v219                         // 000000006310: D26800CD 0003B7DA
	v_cvt_pk_bf16_f32 v206, v220, v221                         // 000000006318: D26800CE 0003BBDC
	v_cvt_pk_bf16_f32 v207, v222, v223                         // 000000006320: D26800CF 0003BFDE
	v_cvt_pk_bf16_f32 v208, v224, v225                         // 000000006328: D26800D0 0003C3E0
	v_cvt_pk_bf16_f32 v209, v226, v227                         // 000000006330: D26800D1 0003C7E2
	v_cvt_pk_bf16_f32 v210, v228, v229                         // 000000006338: D26800D2 0003CBE4
	v_cvt_pk_bf16_f32 v211, v230, v231                         // 000000006340: D26800D3 0003CFE6
	v_cvt_pk_bf16_f32 v212, v232, v233                         // 000000006348: D26800D4 0003D3E8
	v_cvt_pk_bf16_f32 v213, v234, v235                         // 000000006350: D26800D5 0003D7EA
	v_cvt_pk_bf16_f32 v214, v236, v237                         // 000000006358: D26800D6 0003DBEC
	v_cvt_pk_bf16_f32 v215, v238, v239                         // 000000006360: D26800D7 0003DFEE
	v_cvt_pk_bf16_f32 v216, v240, v241                         // 000000006368: D26800D8 0003E3F0
	v_cvt_pk_bf16_f32 v217, v242, v243                         // 000000006370: D26800D9 0003E7F2
	v_cvt_pk_bf16_f32 v218, v244, v245                         // 000000006378: D26800DA 0003EBF4
	v_cvt_pk_bf16_f32 v219, v246, v247                         // 000000006380: D26800DB 0003EFF6
	v_cvt_pk_bf16_f32 v220, v248, v249                         // 000000006388: D26800DC 0003F3F8
	v_cvt_pk_bf16_f32 v221, v250, v251                         // 000000006390: D26800DD 0003F7FA
	v_cvt_pk_bf16_f32 v222, v252, v253                         // 000000006398: D26800DE 0003FBFC
	v_cvt_pk_bf16_f32 v223, v254, v255                         // 0000000063A0: D26800DF 0003FFFE
	ds_write_b64 v4, v[192:193]                                // 0000000063A8: D89A0000 0000C004
	ds_write_b64 v4, v[194:195] offset:8704                    // 0000000063B0: D89A2200 0000C204
	ds_write_b64 v5, v[196:197]                                // 0000000063B8: D89A0000 0000C405
	ds_write_b64 v5, v[198:199] offset:8704                    // 0000000063C0: D89A2200 0000C605
	ds_write_b64 v4, v[200:201] offset:2176                    // 0000000063C8: D89A0880 0000C804
	ds_write_b64 v4, v[202:203] offset:10880                   // 0000000063D0: D89A2A80 0000CA04
	ds_write_b64 v5, v[204:205] offset:2176                    // 0000000063D8: D89A0880 0000CC05
	ds_write_b64 v5, v[206:207] offset:10880                   // 0000000063E0: D89A2A80 0000CE05
	ds_write_b64 v4, v[208:209] offset:4352                    // 0000000063E8: D89A1100 0000D004
	ds_write_b64 v4, v[210:211] offset:13056                   // 0000000063F0: D89A3300 0000D204
	ds_write_b64 v5, v[212:213] offset:4352                    // 0000000063F8: D89A1100 0000D405
	ds_write_b64 v5, v[214:215] offset:13056                   // 000000006400: D89A3300 0000D605
	ds_write_b64 v4, v[216:217] offset:6528                    // 000000006408: D89A1980 0000D804
	ds_write_b64 v4, v[218:219] offset:15232                   // 000000006410: D89A3B80 0000DA04
	ds_write_b64 v5, v[220:221] offset:6528                    // 000000006418: D89A1980 0000DC05
	ds_write_b64 v5, v[222:223] offset:15232                   // 000000006420: D89A3B80 0000DE05
	s_waitcnt lgkmcnt(0)                                       // 000000006428: BF8CC07F
	s_barrier                                                  // 00000000642C: BF8A0000
	ds_read_b32 v64, v6                                        // 000000006430: D86C0000 40000006
	ds_read_b32 v65, v6 offset:4352                            // 000000006438: D86C1100 41000006
	ds_read_b32 v66, v6 offset:8                               // 000000006440: D86C0008 42000006
	ds_read_b32 v67, v6 offset:4360                            // 000000006448: D86C1108 43000006
	ds_read_b32 v68, v6 offset:32                              // 000000006450: D86C0020 44000006
	ds_read_b32 v69, v6 offset:4384                            // 000000006458: D86C1120 45000006
	ds_read_b32 v70, v6 offset:40                              // 000000006460: D86C0028 46000006
	ds_read_b32 v71, v6 offset:4392                            // 000000006468: D86C1128 47000006
	ds_read_b32 v72, v6 offset:8704                            // 000000006470: D86C2200 48000006
	ds_read_b32 v73, v6 offset:13056                           // 000000006478: D86C3300 49000006
	ds_read_b32 v74, v6 offset:8712                            // 000000006480: D86C2208 4A000006
	ds_read_b32 v75, v6 offset:13064                           // 000000006488: D86C3308 4B000006
	ds_read_b32 v76, v6 offset:8736                            // 000000006490: D86C2220 4C000006
	ds_read_b32 v77, v6 offset:13088                           // 000000006498: D86C3320 4D000006
	ds_read_b32 v78, v6 offset:8744                            // 0000000064A0: D86C2228 4E000006
	ds_read_b32 v79, v6 offset:13096                           // 0000000064A8: D86C3328 4F000006
	ds_read_b32 v80, v7                                        // 0000000064B0: D86C0000 50000007
	ds_read_b32 v81, v7 offset:4352                            // 0000000064B8: D86C1100 51000007
	ds_read_b32 v82, v7 offset:8                               // 0000000064C0: D86C0008 52000007
	ds_read_b32 v83, v7 offset:4360                            // 0000000064C8: D86C1108 53000007
	ds_read_b32 v84, v7 offset:32                              // 0000000064D0: D86C0020 54000007
	ds_read_b32 v85, v7 offset:4384                            // 0000000064D8: D86C1120 55000007
	ds_read_b32 v86, v7 offset:40                              // 0000000064E0: D86C0028 56000007
	ds_read_b32 v87, v7 offset:4392                            // 0000000064E8: D86C1128 57000007
	ds_read_b32 v88, v7 offset:8704                            // 0000000064F0: D86C2200 58000007
	ds_read_b32 v89, v7 offset:13056                           // 0000000064F8: D86C3300 59000007
	ds_read_b32 v90, v7 offset:8712                            // 000000006500: D86C2208 5A000007
	ds_read_b32 v91, v7 offset:13064                           // 000000006508: D86C3308 5B000007
	ds_read_b32 v92, v7 offset:8736                            // 000000006510: D86C2220 5C000007
	ds_read_b32 v93, v7 offset:13088                           // 000000006518: D86C3320 5D000007
	ds_read_b32 v94, v7 offset:8744                            // 000000006520: D86C2228 5E000007
	ds_read_b32 v95, v7 offset:13096                           // 000000006528: D86C3328 5F000007
	s_waitcnt lgkmcnt(0)                                       // 000000006530: BF8CC07F
	s_setvskip s20, 0                                          // 000000006534: BF108014
	global_atomic_pk_add_bf16 v96, v64, s[8:9]                 // 000000006538: DD488000 00084060
	s_setvskip 0, 0                                            // 000000006540: BF108080
	s_setvskip s20, 0                                          // 000000006544: BF108014
	global_atomic_pk_add_bf16 v96, v65, s[8:9] offset:256      // 000000006548: DD488100 00084160
	s_setvskip 0, 0                                            // 000000006550: BF108080
	s_setvskip s20, 1                                          // 000000006554: BF108114
	global_atomic_pk_add_bf16 v98, v66, s[8:9]                 // 000000006558: DD488000 00084262
	s_setvskip 0, 0                                            // 000000006560: BF108080
	s_setvskip s20, 1                                          // 000000006564: BF108114
	global_atomic_pk_add_bf16 v98, v67, s[8:9] offset:256      // 000000006568: DD488100 00084362
	s_setvskip 0, 0                                            // 000000006570: BF108080
	s_setvskip s20, 2                                          // 000000006574: BF108214
	global_atomic_pk_add_bf16 v100, v68, s[8:9]                // 000000006578: DD488000 00084464
	s_setvskip 0, 0                                            // 000000006580: BF108080
	s_setvskip s20, 2                                          // 000000006584: BF108214
	global_atomic_pk_add_bf16 v100, v69, s[8:9] offset:256     // 000000006588: DD488100 00084564
	s_setvskip 0, 0                                            // 000000006590: BF108080
	s_setvskip s20, 3                                          // 000000006594: BF108314
	global_atomic_pk_add_bf16 v102, v70, s[8:9]                // 000000006598: DD488000 00084666
	s_setvskip 0, 0                                            // 0000000065A0: BF108080
	s_setvskip s20, 3                                          // 0000000065A4: BF108314
	global_atomic_pk_add_bf16 v102, v71, s[8:9] offset:256     // 0000000065A8: DD488100 00084766
	s_setvskip 0, 0                                            // 0000000065B0: BF108080
	s_setvskip s20, 4                                          // 0000000065B4: BF108414
	global_atomic_pk_add_bf16 v104, v72, s[8:9]                // 0000000065B8: DD488000 00084868
	s_setvskip 0, 0                                            // 0000000065C0: BF108080
	s_setvskip s20, 4                                          // 0000000065C4: BF108414
	global_atomic_pk_add_bf16 v104, v73, s[8:9] offset:256     // 0000000065C8: DD488100 00084968
	s_setvskip 0, 0                                            // 0000000065D0: BF108080
	s_setvskip s20, 5                                          // 0000000065D4: BF108514
	global_atomic_pk_add_bf16 v106, v74, s[8:9]                // 0000000065D8: DD488000 00084A6A
	s_setvskip 0, 0                                            // 0000000065E0: BF108080
	s_setvskip s20, 5                                          // 0000000065E4: BF108514
	global_atomic_pk_add_bf16 v106, v75, s[8:9] offset:256     // 0000000065E8: DD488100 00084B6A
	s_setvskip 0, 0                                            // 0000000065F0: BF108080
	s_setvskip s20, 6                                          // 0000000065F4: BF108614
	global_atomic_pk_add_bf16 v108, v76, s[8:9]                // 0000000065F8: DD488000 00084C6C
	s_setvskip 0, 0                                            // 000000006600: BF108080
	s_setvskip s20, 6                                          // 000000006604: BF108614
	global_atomic_pk_add_bf16 v108, v77, s[8:9] offset:256     // 000000006608: DD488100 00084D6C
	s_setvskip 0, 0                                            // 000000006610: BF108080
	s_setvskip s20, 7                                          // 000000006614: BF108714
	global_atomic_pk_add_bf16 v110, v78, s[8:9]                // 000000006618: DD488000 00084E6E
	s_setvskip 0, 0                                            // 000000006620: BF108080
	s_setvskip s20, 7                                          // 000000006624: BF108714
	global_atomic_pk_add_bf16 v110, v79, s[8:9] offset:256     // 000000006628: DD488100 00084F6E
	s_setvskip 0, 0                                            // 000000006630: BF108080
	s_setvskip s20, 8                                          // 000000006634: BF108814
	global_atomic_pk_add_bf16 v112, v80, s[8:9]                // 000000006638: DD488000 00085070
	s_setvskip 0, 0                                            // 000000006640: BF108080
	s_setvskip s20, 8                                          // 000000006644: BF108814
	global_atomic_pk_add_bf16 v112, v81, s[8:9] offset:256     // 000000006648: DD488100 00085170
	s_setvskip 0, 0                                            // 000000006650: BF108080
	s_setvskip s20, 9                                          // 000000006654: BF108914
	global_atomic_pk_add_bf16 v114, v82, s[8:9]                // 000000006658: DD488000 00085272
	s_setvskip 0, 0                                            // 000000006660: BF108080
	s_setvskip s20, 9                                          // 000000006664: BF108914
	global_atomic_pk_add_bf16 v114, v83, s[8:9] offset:256     // 000000006668: DD488100 00085372
	s_setvskip 0, 0                                            // 000000006670: BF108080
	s_setvskip s20, 10                                         // 000000006674: BF108A14
	global_atomic_pk_add_bf16 v116, v84, s[8:9]                // 000000006678: DD488000 00085474
	s_setvskip 0, 0                                            // 000000006680: BF108080
	s_setvskip s20, 10                                         // 000000006684: BF108A14
	global_atomic_pk_add_bf16 v116, v85, s[8:9] offset:256     // 000000006688: DD488100 00085574
	s_setvskip 0, 0                                            // 000000006690: BF108080
	s_setvskip s20, 11                                         // 000000006694: BF108B14
	global_atomic_pk_add_bf16 v118, v86, s[8:9]                // 000000006698: DD488000 00085676
	s_setvskip 0, 0                                            // 0000000066A0: BF108080
	s_setvskip s20, 11                                         // 0000000066A4: BF108B14
	global_atomic_pk_add_bf16 v118, v87, s[8:9] offset:256     // 0000000066A8: DD488100 00085776
	s_setvskip 0, 0                                            // 0000000066B0: BF108080
	s_setvskip s20, 12                                         // 0000000066B4: BF108C14
	global_atomic_pk_add_bf16 v120, v88, s[8:9]                // 0000000066B8: DD488000 00085878
	s_setvskip 0, 0                                            // 0000000066C0: BF108080
	s_setvskip s20, 12                                         // 0000000066C4: BF108C14
	global_atomic_pk_add_bf16 v120, v89, s[8:9] offset:256     // 0000000066C8: DD488100 00085978
	s_setvskip 0, 0                                            // 0000000066D0: BF108080
	s_setvskip s20, 13                                         // 0000000066D4: BF108D14
	global_atomic_pk_add_bf16 v122, v90, s[8:9]                // 0000000066D8: DD488000 00085A7A
	s_setvskip 0, 0                                            // 0000000066E0: BF108080
	s_setvskip s20, 13                                         // 0000000066E4: BF108D14
	global_atomic_pk_add_bf16 v122, v91, s[8:9] offset:256     // 0000000066E8: DD488100 00085B7A
	s_setvskip 0, 0                                            // 0000000066F0: BF108080
	s_setvskip s20, 14                                         // 0000000066F4: BF108E14
	global_atomic_pk_add_bf16 v124, v92, s[8:9]                // 0000000066F8: DD488000 00085C7C
	s_setvskip 0, 0                                            // 000000006700: BF108080
	s_setvskip s20, 14                                         // 000000006704: BF108E14
	global_atomic_pk_add_bf16 v124, v93, s[8:9] offset:256     // 000000006708: DD488100 00085D7C
	s_setvskip 0, 0                                            // 000000006710: BF108080
	s_setvskip s20, 15                                         // 000000006714: BF108F14
	global_atomic_pk_add_bf16 v126, v94, s[8:9]                // 000000006718: DD488000 00085E7E
	s_setvskip 0, 0                                            // 000000006720: BF108080
	s_setvskip s20, 15                                         // 000000006724: BF108F14
	global_atomic_pk_add_bf16 v126, v95, s[8:9] offset:256     // 000000006728: DD488100 00085F7E
	s_setvskip 0, 0                                            // 000000006730: BF108080
	s_add_u32 s8, s55, s8                                      // 000000006734: 80080837
	s_addc_u32 s9, 0, s9                                       // 000000006738: 82090980
	s_addk_i32 s76, 0x100                                      // 00000000673C: B74C0100
	s_cmp_lt_i32 s76, s77                                      // 000000006740: BF044D4C
	s_cbranch_scc0 label_0E53                                  // 000000006744: BF840001
	s_branch label_0A40                                        // 000000006748: BF82FBED

000000000000674c <label_0E53>:
	s_nop 0                                                    // 00000000674C: BF800000
	s_nop 0                                                    // 000000006750: BF800000
	s_branch label_18AE                                        // 000000006754: BF820A58

0000000000006758 <label_0E56>:
	s_waitcnt vmcnt(6) lgkmcnt(0)                              // 000000006758: BF8C0076
	s_barrier                                                  // 00000000675C: BF8A0000
	v_mfma_f32_16x16x128_f8f6f4 v[128:131], a[0:7], a[64:71], 0// 000000006760: D3AD0080 1A028100
	buffer_load_dwordx4 v43, s[20:23], 0 offen lds             // 000000006768: E05D1000 8005002B
	s_add_u32 m0, 0x1080, s49                                  // 000000006770: 807C31FF 00001080
	buffer_load_dwordx4 v44, s[20:23], 0 offen lds             // 000000006778: E05D1000 8005002C
	s_add_u32 m0, 0, s51                                       // 000000006780: 807C3380
	buffer_load_dwordx4 v45, s[20:23], 0 offen lds             // 000000006784: E05D1000 8005002D
	s_add_u32 m0, 0x1080, s51                                  // 00000000678C: 807C33FF 00001080
	buffer_load_dwordx4 v46, s[20:23], 0 offen lds             // 000000006794: E05D1000 8005002E
	s_add_u32 m0, 0x1080, s49                                  // 00000000679C: 807C31FF 00001080
	s_add_u32 m0, m0, s72                                      // 0000000067A4: 807C487C
	buffer_load_dword v9, s[28:31], 0 offen lds                // 0000000067A8: E0511000 80070009
	s_add_u32 m0, m0, 0x4a00                                   // 0000000067B0: 807CFF7C 00004A00
	buffer_load_dword v11, s[28:31], 0 offen lds               // 0000000067B8: E0511000 8007000B
	s_add_u32 m0, 0, s48                                       // 0000000067C0: 807C3080
	buffer_load_dword v38, v19, s[32:35], 0 offen              // 0000000067C4: E0501000 80082613
	buffer_load_dwordx4 a[32:35], v47, s[96:99], 0 offen       // 0000000067CC: E05C1000 8098202F
	buffer_load_dwordx4 a[36:39], v47, s[96:99], 0 offen offset:1024// 0000000067D4: E05C1400 8098242F
	v_mfma_f32_16x16x128_f8f6f4 v[132:135], a[0:7], a[80:87], 0// 0000000067DC: D3AD0084 1A02A100
	v_mfma_f32_16x16x128_f8f6f4 v[136:139], a[0:7], a[96:103], 0// 0000000067E4: D3AD0088 1A02C100
	buffer_load_dwordx4 a[40:43], v48, s[96:99], 0 offen       // 0000000067EC: E05C1000 80982830
	buffer_load_dwordx4 a[44:47], v48, s[96:99], 0 offen offset:1024// 0000000067F4: E05C1400 80982C30
	v_mfma_f32_16x16x128_f8f6f4 v[140:143], a[0:7], a[112:119], 0// 0000000067FC: D3AD008C 1A02E100
	s_waitcnt vmcnt(15)                                        // 000000006804: BF8C0F7F
	v_mfma_f32_16x16x128_f8f6f4 v[144:147], a[8:15], a[64:71], 0// 000000006808: D3AD0090 1A028108
	buffer_load_dwordx4 a[48:51], v47, s[96:99], 0 offen offset:2048// 000000006810: E05C1800 8098302F
	buffer_load_dwordx4 a[52:55], v47, s[96:99], 0 offen offset:3072// 000000006818: E05C1C00 8098342F
	v_mfma_f32_16x16x128_f8f6f4 v[148:151], a[8:15], a[80:87], 0// 000000006820: D3AD0094 1A02A108
	v_mfma_f32_16x16x128_f8f6f4 v[152:155], a[8:15], a[96:103], 0// 000000006828: D3AD0098 1A02C108
	buffer_load_dwordx4 a[56:59], v48, s[96:99], 0 offen offset:2048// 000000006830: E05C1800 80983830
	buffer_load_dwordx4 a[60:63], v48, s[96:99], 0 offen offset:3072// 000000006838: E05C1C00 80983C30
	v_mfma_f32_16x16x128_f8f6f4 v[156:159], a[8:15], a[112:119], 0// 000000006840: D3AD009C 1A02E108
	v_mul_f32_dpp v58, v37, v21 row_newbcast:0 row_mask:0xf bank_mask:0xf// 000000006848: 0A742AFA FF015025
	v_mov_b32_e32 v59, v58                                     // 000000006850: 7E76033A
	v_pk_fma_f32 v[64:65], v[128:129], v[58:59], v[64:65]      // 000000006854: D3B04040 1D027580
	v_pk_fma_f32 v[66:67], v[130:131], v[58:59], v[66:67]      // 00000000685C: D3B04042 1D0A7582
	v_pk_fma_f32 v[80:81], v[144:145], v[58:59], v[80:81]      // 000000006864: D3B04050 1D427590
	v_pk_fma_f32 v[82:83], v[146:147], v[58:59], v[82:83]      // 00000000686C: D3B04052 1D4A7592
	v_mul_f32_dpp v58, v37, v22 row_newbcast:0 row_mask:0xf bank_mask:0xf// 000000006874: 0A742CFA FF015025
	v_mov_b32_e32 v59, v58                                     // 00000000687C: 7E76033A
	v_pk_fma_f32 v[68:69], v[132:133], v[58:59], v[68:69]      // 000000006880: D3B04044 1D127584
	v_pk_fma_f32 v[70:71], v[134:135], v[58:59], v[70:71]      // 000000006888: D3B04046 1D1A7586
	v_pk_fma_f32 v[84:85], v[148:149], v[58:59], v[84:85]      // 000000006890: D3B04054 1D527594
	v_pk_fma_f32 v[86:87], v[150:151], v[58:59], v[86:87]      // 000000006898: D3B04056 1D5A7596
	v_mul_f32_dpp v58, v37, v23 row_newbcast:0 row_mask:0xf bank_mask:0xf// 0000000068A0: 0A742EFA FF015025
	v_mov_b32_e32 v59, v58                                     // 0000000068A8: 7E76033A
	v_pk_fma_f32 v[72:73], v[136:137], v[58:59], v[72:73]      // 0000000068AC: D3B04048 1D227588
	v_pk_fma_f32 v[74:75], v[138:139], v[58:59], v[74:75]      // 0000000068B4: D3B0404A 1D2A758A
	v_pk_fma_f32 v[88:89], v[152:153], v[58:59], v[88:89]      // 0000000068BC: D3B04058 1D627598
	v_pk_fma_f32 v[90:91], v[154:155], v[58:59], v[90:91]      // 0000000068C4: D3B0405A 1D6A759A
	v_mul_f32_dpp v58, v37, v24 row_newbcast:0 row_mask:0xf bank_mask:0xf// 0000000068CC: 0A7430FA FF015025
	v_mov_b32_e32 v59, v58                                     // 0000000068D4: 7E76033A
	v_pk_fma_f32 v[76:77], v[140:141], v[58:59], v[76:77]      // 0000000068D8: D3B0404C 1D32758C
	v_pk_fma_f32 v[78:79], v[142:143], v[58:59], v[78:79]      // 0000000068E0: D3B0404E 1D3A758E
	v_pk_fma_f32 v[92:93], v[156:157], v[58:59], v[92:93]      // 0000000068E8: D3B0405C 1D72759C
	v_pk_fma_f32 v[94:95], v[158:159], v[58:59], v[94:95]      // 0000000068F0: D3B0405E 1D7A759E
	s_waitcnt vmcnt(17)                                        // 0000000068F8: BF8C4F71
	v_mfma_f32_16x16x128_f8f6f4 v[128:131], a[16:23], a[72:79], 0// 0000000068FC: D3AD0080 1A029110
	v_mfma_f32_16x16x128_f8f6f4 v[132:135], a[16:23], a[88:95], 0// 000000006904: D3AD0084 1A02B110
	v_mfma_f32_16x16x128_f8f6f4 v[136:139], a[16:23], a[104:111], 0// 00000000690C: D3AD0088 1A02D110
	v_mfma_f32_16x16x128_f8f6f4 v[140:143], a[16:23], a[120:127], 0// 000000006914: D3AD008C 1A02F110
	s_waitcnt vmcnt(15)                                        // 00000000691C: BF8C0F7F
	v_mfma_f32_16x16x128_f8f6f4 v[144:147], a[24:31], a[72:79], 0// 000000006920: D3AD0090 1A029118
	v_mfma_f32_16x16x128_f8f6f4 v[148:151], a[24:31], a[88:95], 0// 000000006928: D3AD0094 1A02B118
	v_mfma_f32_16x16x128_f8f6f4 v[152:155], a[24:31], a[104:111], 0// 000000006930: D3AD0098 1A02D118
	v_mfma_f32_16x16x128_f8f6f4 v[156:159], a[24:31], a[120:127], 0// 000000006938: D3AD009C 1A02F118
	v_mul_f32_dpp v58, v37, v25 row_newbcast:2 row_mask:0xf bank_mask:0xf// 000000006940: 0A7432FA FF015225
	v_mov_b32_e32 v59, v58                                     // 000000006948: 7E76033A
	v_pk_fma_f32 v[64:65], v[128:129], v[58:59], v[64:65]      // 00000000694C: D3B04040 1D027580
	v_pk_fma_f32 v[66:67], v[130:131], v[58:59], v[66:67]      // 000000006954: D3B04042 1D0A7582
	v_pk_fma_f32 v[80:81], v[144:145], v[58:59], v[80:81]      // 00000000695C: D3B04050 1D427590
	v_pk_fma_f32 v[82:83], v[146:147], v[58:59], v[82:83]      // 000000006964: D3B04052 1D4A7592
	v_mul_f32_dpp v58, v37, v26 row_newbcast:2 row_mask:0xf bank_mask:0xf// 00000000696C: 0A7434FA FF015225
	v_mov_b32_e32 v59, v58                                     // 000000006974: 7E76033A
	v_pk_fma_f32 v[68:69], v[132:133], v[58:59], v[68:69]      // 000000006978: D3B04044 1D127584
	v_pk_fma_f32 v[70:71], v[134:135], v[58:59], v[70:71]      // 000000006980: D3B04046 1D1A7586
	v_pk_fma_f32 v[84:85], v[148:149], v[58:59], v[84:85]      // 000000006988: D3B04054 1D527594
	v_pk_fma_f32 v[86:87], v[150:151], v[58:59], v[86:87]      // 000000006990: D3B04056 1D5A7596
	v_mul_f32_dpp v58, v37, v27 row_newbcast:2 row_mask:0xf bank_mask:0xf// 000000006998: 0A7436FA FF015225
	v_mov_b32_e32 v59, v58                                     // 0000000069A0: 7E76033A
	v_pk_fma_f32 v[72:73], v[136:137], v[58:59], v[72:73]      // 0000000069A4: D3B04048 1D227588
	v_pk_fma_f32 v[74:75], v[138:139], v[58:59], v[74:75]      // 0000000069AC: D3B0404A 1D2A758A
	v_pk_fma_f32 v[88:89], v[152:153], v[58:59], v[88:89]      // 0000000069B4: D3B04058 1D627598
	v_pk_fma_f32 v[90:91], v[154:155], v[58:59], v[90:91]      // 0000000069BC: D3B0405A 1D6A759A
	v_mul_f32_dpp v58, v37, v28 row_newbcast:2 row_mask:0xf bank_mask:0xf// 0000000069C4: 0A7438FA FF015225
	v_mov_b32_e32 v59, v58                                     // 0000000069CC: 7E76033A
	v_pk_fma_f32 v[76:77], v[140:141], v[58:59], v[76:77]      // 0000000069D0: D3B0404C 1D32758C
	v_pk_fma_f32 v[78:79], v[142:143], v[58:59], v[78:79]      // 0000000069D8: D3B0404E 1D3A758E
	v_pk_fma_f32 v[92:93], v[156:157], v[58:59], v[92:93]      // 0000000069E0: D3B0405C 1D72759C
	v_pk_fma_f32 v[94:95], v[158:159], v[58:59], v[94:95]      // 0000000069E8: D3B0405E 1D7A759E
	s_add_u32 s56, 0x100, s76                                  // 0000000069F0: 80384CFF 00000100
	s_cmp_lt_u32 s56, s77                                      // 0000000069F8: BF0A4D38
	s_cselect_b32 s4, s4, 0                                    // 0000000069FC: 85048004
	s_add_u32 s32, s4, s32                                     // 000000006A00: 80202004
	s_addc_u32 s33, 0, s33                                     // 000000006A04: 82212180
	s_waitcnt vmcnt(6)                                         // 000000006A08: BF8C0F76
	s_barrier                                                  // 000000006A0C: BF8A0000
	v_mfma_f32_16x16x128_f8f6f4 v[128:131], a[32:39], a[64:71], 0// 000000006A10: D3AD0080 1A028120
	buffer_load_dword v37, v17, s[32:35], 0 offen              // 000000006A18: E0501000 80082511
	buffer_load_dwordx4 a[0:3], v47, s[24:27], 0 offen         // 000000006A20: E05C1000 8086002F
	buffer_load_dwordx4 a[4:7], v47, s[24:27], 0 offen offset:1024// 000000006A28: E05C1400 8086042F
	v_mfma_f32_16x16x128_f8f6f4 v[132:135], a[32:39], a[80:87], 0// 000000006A30: D3AD0084 1A02A120
	v_mfma_f32_16x16x128_f8f6f4 v[136:139], a[32:39], a[96:103], 0// 000000006A38: D3AD0088 1A02C120
	buffer_load_dwordx4 a[8:11], v48, s[24:27], 0 offen        // 000000006A40: E05C1000 80860830
	buffer_load_dwordx4 a[12:15], v48, s[24:27], 0 offen offset:1024// 000000006A48: E05C1400 80860C30
	v_mfma_f32_16x16x128_f8f6f4 v[140:143], a[32:39], a[112:119], 0// 000000006A50: D3AD008C 1A02E120
	s_waitcnt vmcnt(9)                                         // 000000006A58: BF8C0F79
	v_mfma_f32_16x16x128_f8f6f4 v[144:147], a[40:47], a[64:71], 0// 000000006A5C: D3AD0090 1A028128
	buffer_load_dwordx4 a[16:19], v47, s[24:27], 0 offen offset:2048// 000000006A64: E05C1800 8086102F
	buffer_load_dwordx4 a[20:23], v47, s[24:27], 0 offen offset:3072// 000000006A6C: E05C1C00 8086142F
	v_mfma_f32_16x16x128_f8f6f4 v[148:151], a[40:47], a[80:87], 0// 000000006A74: D3AD0094 1A02A128
	v_mfma_f32_16x16x128_f8f6f4 v[152:155], a[40:47], a[96:103], 0// 000000006A7C: D3AD0098 1A02C128
	buffer_load_dwordx4 a[24:27], v48, s[24:27], 0 offen offset:2048// 000000006A84: E05C1800 80861830
	buffer_load_dwordx4 a[28:31], v48, s[24:27], 0 offen offset:3072// 000000006A8C: E05C1C00 80861C30
	v_mfma_f32_16x16x128_f8f6f4 v[156:159], a[40:47], a[112:119], 0// 000000006A94: D3AD009C 1A02E128
	v_mul_f32_dpp v58, v38, v21 row_newbcast:0 row_mask:0xf bank_mask:0xf// 000000006A9C: 0A742AFA FF015026
	v_mov_b32_e32 v59, v58                                     // 000000006AA4: 7E76033A
	v_pk_fma_f32 v[96:97], v[128:129], v[58:59], v[96:97]      // 000000006AA8: D3B04060 1D827580
	v_pk_fma_f32 v[98:99], v[130:131], v[58:59], v[98:99]      // 000000006AB0: D3B04062 1D8A7582
	v_pk_fma_f32 v[112:113], v[144:145], v[58:59], v[112:113]  // 000000006AB8: D3B04070 1DC27590
	v_pk_fma_f32 v[114:115], v[146:147], v[58:59], v[114:115]  // 000000006AC0: D3B04072 1DCA7592
	v_mul_f32_dpp v58, v38, v22 row_newbcast:0 row_mask:0xf bank_mask:0xf// 000000006AC8: 0A742CFA FF015026
	v_mov_b32_e32 v59, v58                                     // 000000006AD0: 7E76033A
	v_pk_fma_f32 v[100:101], v[132:133], v[58:59], v[100:101]  // 000000006AD4: D3B04064 1D927584
	v_pk_fma_f32 v[102:103], v[134:135], v[58:59], v[102:103]  // 000000006ADC: D3B04066 1D9A7586
	v_pk_fma_f32 v[116:117], v[148:149], v[58:59], v[116:117]  // 000000006AE4: D3B04074 1DD27594
	v_pk_fma_f32 v[118:119], v[150:151], v[58:59], v[118:119]  // 000000006AEC: D3B04076 1DDA7596
	v_mul_f32_dpp v58, v38, v23 row_newbcast:0 row_mask:0xf bank_mask:0xf// 000000006AF4: 0A742EFA FF015026
	v_mov_b32_e32 v59, v58                                     // 000000006AFC: 7E76033A
	v_pk_fma_f32 v[104:105], v[136:137], v[58:59], v[104:105]  // 000000006B00: D3B04068 1DA27588
	v_pk_fma_f32 v[106:107], v[138:139], v[58:59], v[106:107]  // 000000006B08: D3B0406A 1DAA758A
	v_pk_fma_f32 v[120:121], v[152:153], v[58:59], v[120:121]  // 000000006B10: D3B04078 1DE27598
	v_pk_fma_f32 v[122:123], v[154:155], v[58:59], v[122:123]  // 000000006B18: D3B0407A 1DEA759A
	v_mul_f32_dpp v58, v38, v24 row_newbcast:0 row_mask:0xf bank_mask:0xf// 000000006B20: 0A7430FA FF015026
	v_mov_b32_e32 v59, v58                                     // 000000006B28: 7E76033A
	v_pk_fma_f32 v[108:109], v[140:141], v[58:59], v[108:109]  // 000000006B2C: D3B0406C 1DB2758C
	v_pk_fma_f32 v[110:111], v[142:143], v[58:59], v[110:111]  // 000000006B34: D3B0406E 1DBA758E
	v_pk_fma_f32 v[124:125], v[156:157], v[58:59], v[124:125]  // 000000006B3C: D3B0407C 1DF2759C
	v_pk_fma_f32 v[126:127], v[158:159], v[58:59], v[126:127]  // 000000006B44: D3B0407E 1DFA759E
	s_waitcnt vmcnt(11)                                        // 000000006B4C: BF8C0F7B
	v_mfma_f32_16x16x128_f8f6f4 v[128:131], a[48:55], a[72:79], 0// 000000006B50: D3AD0080 1A029130
	v_mfma_f32_16x16x128_f8f6f4 v[132:135], a[48:55], a[88:95], 0// 000000006B58: D3AD0084 1A02B130
	ds_read_b128 a[128:131], v2 offset:9472                    // 000000006B60: DBFE2500 80000002
	ds_read_b128 a[132:135], v2 offset:9536                    // 000000006B68: DBFE2540 84000002
	ds_read_b128 a[136:139], v2 offset:13696                   // 000000006B70: DBFE3580 88000002
	ds_read_b128 a[140:143], v2 offset:13760                   // 000000006B78: DBFE35C0 8C000002
	ds_read_b32 v29, v3 offset:17920                           // 000000006B80: D86C4600 1D000003
	ds_read_b32 v30, v3 offset:18176                           // 000000006B88: D86C4700 1E000003
	v_mfma_f32_16x16x128_f8f6f4 v[136:139], a[48:55], a[104:111], 0// 000000006B90: D3AD0088 1A02D130
	v_mfma_f32_16x16x128_f8f6f4 v[140:143], a[48:55], a[120:127], 0// 000000006B98: D3AD008C 1A02F130
	ds_read_b128 a[144:147], v2 offset:9984                    // 000000006BA0: DBFE2700 90000002
	ds_read_b128 a[148:151], v2 offset:10048                   // 000000006BA8: DBFE2740 94000002
	ds_read_b128 a[152:155], v2 offset:14208                   // 000000006BB0: DBFE3780 98000002
	ds_read_b128 a[156:159], v2 offset:14272                   // 000000006BB8: DBFE37C0 9C000002
	ds_read_b32 v31, v3 offset:36864                           // 000000006BC0: D86C9000 1F000003
	ds_read_b32 v32, v3 offset:37120                           // 000000006BC8: D86C9100 20000003
	s_waitcnt vmcnt(9)                                         // 000000006BD0: BF8C0F79
	v_mfma_f32_16x16x128_f8f6f4 v[144:147], a[56:63], a[72:79], 0// 000000006BD4: D3AD0090 1A029138
	v_mfma_f32_16x16x128_f8f6f4 v[148:151], a[56:63], a[88:95], 0// 000000006BDC: D3AD0094 1A02B138
	ds_read_b128 a[160:163], v2 offset:28416                   // 000000006BE4: DBFE6F00 A0000002
	ds_read_b128 a[164:167], v2 offset:28480                   // 000000006BEC: DBFE6F40 A4000002
	ds_read_b128 a[168:171], v2 offset:32640                   // 000000006BF4: DBFE7F80 A8000002
	ds_read_b128 a[172:175], v2 offset:32704                   // 000000006BFC: DBFE7FC0 AC000002
	ds_read_b32 v33, v3 offset:18432                           // 000000006C04: D86C4800 21000003
	ds_read_b32 v34, v3 offset:18688                           // 000000006C0C: D86C4900 22000003
	v_mfma_f32_16x16x128_f8f6f4 v[152:155], a[56:63], a[104:111], 0// 000000006C14: D3AD0098 1A02D138
	v_mfma_f32_16x16x128_f8f6f4 v[156:159], a[56:63], a[120:127], 0// 000000006C1C: D3AD009C 1A02F138
	ds_read_b128 a[176:179], v2 offset:28928                   // 000000006C24: DBFE7100 B0000002
	ds_read_b128 a[180:183], v2 offset:28992                   // 000000006C2C: DBFE7140 B4000002
	ds_read_b128 a[184:187], v2 offset:33152                   // 000000006C34: DBFE8180 B8000002
	ds_read_b128 a[188:191], v2 offset:33216                   // 000000006C3C: DBFE81C0 BC000002
	ds_read_b32 v35, v3 offset:37376                           // 000000006C44: D86C9200 23000003
	ds_read_b32 v36, v3 offset:37632                           // 000000006C4C: D86C9300 24000003
	v_mul_f32_dpp v58, v38, v25 row_newbcast:2 row_mask:0xf bank_mask:0xf// 000000006C54: 0A7432FA FF015226
	v_mov_b32_e32 v59, v58                                     // 000000006C5C: 7E76033A
	v_pk_fma_f32 v[96:97], v[128:129], v[58:59], v[96:97]      // 000000006C60: D3B04060 1D827580
	v_pk_fma_f32 v[98:99], v[130:131], v[58:59], v[98:99]      // 000000006C68: D3B04062 1D8A7582
	v_pk_fma_f32 v[112:113], v[144:145], v[58:59], v[112:113]  // 000000006C70: D3B04070 1DC27590
	v_pk_fma_f32 v[114:115], v[146:147], v[58:59], v[114:115]  // 000000006C78: D3B04072 1DCA7592
	v_mul_f32_dpp v58, v38, v26 row_newbcast:2 row_mask:0xf bank_mask:0xf// 000000006C80: 0A7434FA FF015226
	v_mov_b32_e32 v59, v58                                     // 000000006C88: 7E76033A
	v_pk_fma_f32 v[100:101], v[132:133], v[58:59], v[100:101]  // 000000006C8C: D3B04064 1D927584
	v_pk_fma_f32 v[102:103], v[134:135], v[58:59], v[102:103]  // 000000006C94: D3B04066 1D9A7586
	v_pk_fma_f32 v[116:117], v[148:149], v[58:59], v[116:117]  // 000000006C9C: D3B04074 1DD27594
	v_pk_fma_f32 v[118:119], v[150:151], v[58:59], v[118:119]  // 000000006CA4: D3B04076 1DDA7596
	v_mul_f32_dpp v58, v38, v27 row_newbcast:2 row_mask:0xf bank_mask:0xf// 000000006CAC: 0A7436FA FF015226
	v_mov_b32_e32 v59, v58                                     // 000000006CB4: 7E76033A
	v_pk_fma_f32 v[104:105], v[136:137], v[58:59], v[104:105]  // 000000006CB8: D3B04068 1DA27588
	v_pk_fma_f32 v[106:107], v[138:139], v[58:59], v[106:107]  // 000000006CC0: D3B0406A 1DAA758A
	v_pk_fma_f32 v[120:121], v[152:153], v[58:59], v[120:121]  // 000000006CC8: D3B04078 1DE27598
	v_pk_fma_f32 v[122:123], v[154:155], v[58:59], v[122:123]  // 000000006CD0: D3B0407A 1DEA759A
	v_mul_f32_dpp v58, v38, v28 row_newbcast:2 row_mask:0xf bank_mask:0xf// 000000006CD8: 0A7438FA FF015226
	v_mov_b32_e32 v59, v58                                     // 000000006CE0: 7E76033A
	v_pk_fma_f32 v[108:109], v[140:141], v[58:59], v[108:109]  // 000000006CE4: D3B0406C 1DB2758C
	v_pk_fma_f32 v[110:111], v[142:143], v[58:59], v[110:111]  // 000000006CEC: D3B0406E 1DBA758E
	v_pk_fma_f32 v[124:125], v[156:157], v[58:59], v[124:125]  // 000000006CF4: D3B0407C 1DF2759C
	v_pk_fma_f32 v[126:127], v[158:159], v[58:59], v[126:127]  // 000000006CFC: D3B0407E 1DFA759E
	s_add_u32 s56, 0x200, s76                                  // 000000006D04: 80384CFF 00000200
	s_cmp_lt_u32 s56, s77                                      // 000000006D0C: BF0A4D38
	s_cselect_b32 s53, s53, 0                                  // 000000006D10: 85358035
	s_cselect_b32 s3, s3, 0                                    // 000000006D14: 85038003
	s_add_u32 s56, 0x200, s76                                  // 000000006D18: 80384CFF 00000200
	s_cmp_lt_u32 s56, s77                                      // 000000006D20: BF0A4D38
	s_cselect_b32 s54, s54, 0                                  // 000000006D24: 85368036
	s_add_u32 s20, s53, s20                                    // 000000006D28: 80141435
	s_addc_u32 s21, 0, s21                                     // 000000006D2C: 82151580
	s_add_u32 s28, s3, s28                                     // 000000006D30: 801C1C03
	s_addc_u32 s29, 0, s29                                     // 000000006D34: 821D1D80
	s_add_u32 s24, s54, s24                                    // 000000006D38: 80181836
	s_addc_u32 s25, 0, s25                                     // 000000006D3C: 82191980
	s_add_u32 s96, s94, s96                                    // 000000006D40: 8060605E
	s_addc_u32 s97, 0, s97                                     // 000000006D44: 82616180
	s_addk_i32 s76, 0x100                                      // 000000006D48: B74C0100
	s_cmp_lt_i32 s76, s77                                      // 000000006D4C: BF044D4C
	s_cbranch_scc0 label_1155                                  // 000000006D50: BF840180
	s_waitcnt vmcnt(6) lgkmcnt(0)                              // 000000006D54: BF8C0076
	s_barrier                                                  // 000000006D58: BF8A0000
	v_mfma_f32_16x16x128_f8f6f4 v[128:131], a[0:7], a[128:135], 0// 000000006D5C: D3AD0080 1A030100
	buffer_load_dwordx4 v43, s[20:23], 0 offen lds             // 000000006D64: E05D1000 8005002B
	s_add_u32 m0, 0x1080, s48                                  // 000000006D6C: 807C30FF 00001080
	buffer_load_dwordx4 v44, s[20:23], 0 offen lds             // 000000006D74: E05D1000 8005002C
	s_add_u32 m0, 0, s50                                       // 000000006D7C: 807C3280
	buffer_load_dwordx4 v45, s[20:23], 0 offen lds             // 000000006D80: E05D1000 8005002D
	s_add_u32 m0, 0x1080, s50                                  // 000000006D88: 807C32FF 00001080
	buffer_load_dwordx4 v46, s[20:23], 0 offen lds             // 000000006D90: E05D1000 8005002E
	s_add_u32 m0, 0x1080, s48                                  // 000000006D98: 807C30FF 00001080
	s_add_u32 m0, m0, s72                                      // 000000006DA0: 807C487C
	buffer_load_dword v9, s[28:31], 0 offen lds                // 000000006DA4: E0511000 80070009
	s_add_u32 m0, m0, 0x4a00                                   // 000000006DAC: 807CFF7C 00004A00
	buffer_load_dword v11, s[28:31], 0 offen lds               // 000000006DB4: E0511000 8007000B
	s_add_u32 m0, 0, s49                                       // 000000006DBC: 807C3180
	buffer_load_dword v38, v19, s[32:35], 0 offen              // 000000006DC0: E0501000 80082613
	buffer_load_dwordx4 a[32:35], v47, s[96:99], 0 offen       // 000000006DC8: E05C1000 8098202F
	buffer_load_dwordx4 a[36:39], v47, s[96:99], 0 offen offset:1024// 000000006DD0: E05C1400 8098242F
	v_mfma_f32_16x16x128_f8f6f4 v[132:135], a[0:7], a[144:151], 0// 000000006DD8: D3AD0084 1A032100
	v_mfma_f32_16x16x128_f8f6f4 v[136:139], a[0:7], a[160:167], 0// 000000006DE0: D3AD0088 1A034100
	buffer_load_dwordx4 a[40:43], v48, s[96:99], 0 offen       // 000000006DE8: E05C1000 80982830
	buffer_load_dwordx4 a[44:47], v48, s[96:99], 0 offen offset:1024// 000000006DF0: E05C1400 80982C30
	v_mfma_f32_16x16x128_f8f6f4 v[140:143], a[0:7], a[176:183], 0// 000000006DF8: D3AD008C 1A036100
	s_waitcnt vmcnt(15)                                        // 000000006E00: BF8C0F7F
	v_mfma_f32_16x16x128_f8f6f4 v[144:147], a[8:15], a[128:135], 0// 000000006E04: D3AD0090 1A030108
	buffer_load_dwordx4 a[48:51], v47, s[96:99], 0 offen offset:2048// 000000006E0C: E05C1800 8098302F
	buffer_load_dwordx4 a[52:55], v47, s[96:99], 0 offen offset:3072// 000000006E14: E05C1C00 8098342F
	v_mfma_f32_16x16x128_f8f6f4 v[148:151], a[8:15], a[144:151], 0// 000000006E1C: D3AD0094 1A032108
	v_mfma_f32_16x16x128_f8f6f4 v[152:155], a[8:15], a[160:167], 0// 000000006E24: D3AD0098 1A034108
	buffer_load_dwordx4 a[56:59], v48, s[96:99], 0 offen offset:2048// 000000006E2C: E05C1800 80983830
	buffer_load_dwordx4 a[60:63], v48, s[96:99], 0 offen offset:3072// 000000006E34: E05C1C00 80983C30
	v_mfma_f32_16x16x128_f8f6f4 v[156:159], a[8:15], a[176:183], 0// 000000006E3C: D3AD009C 1A036108
	v_mul_f32_dpp v58, v37, v29 row_newbcast:0 row_mask:0xf bank_mask:0xf// 000000006E44: 0A743AFA FF015025
	v_mov_b32_e32 v59, v58                                     // 000000006E4C: 7E76033A
	v_pk_fma_f32 v[64:65], v[128:129], v[58:59], v[64:65]      // 000000006E50: D3B04040 1D027580
	v_pk_fma_f32 v[66:67], v[130:131], v[58:59], v[66:67]      // 000000006E58: D3B04042 1D0A7582
	v_pk_fma_f32 v[80:81], v[144:145], v[58:59], v[80:81]      // 000000006E60: D3B04050 1D427590
	v_pk_fma_f32 v[82:83], v[146:147], v[58:59], v[82:83]      // 000000006E68: D3B04052 1D4A7592
	v_mul_f32_dpp v58, v37, v30 row_newbcast:0 row_mask:0xf bank_mask:0xf// 000000006E70: 0A743CFA FF015025
	v_mov_b32_e32 v59, v58                                     // 000000006E78: 7E76033A
	v_pk_fma_f32 v[68:69], v[132:133], v[58:59], v[68:69]      // 000000006E7C: D3B04044 1D127584
	v_pk_fma_f32 v[70:71], v[134:135], v[58:59], v[70:71]      // 000000006E84: D3B04046 1D1A7586
	v_pk_fma_f32 v[84:85], v[148:149], v[58:59], v[84:85]      // 000000006E8C: D3B04054 1D527594
	v_pk_fma_f32 v[86:87], v[150:151], v[58:59], v[86:87]      // 000000006E94: D3B04056 1D5A7596
	v_mul_f32_dpp v58, v37, v31 row_newbcast:0 row_mask:0xf bank_mask:0xf// 000000006E9C: 0A743EFA FF015025
	v_mov_b32_e32 v59, v58                                     // 000000006EA4: 7E76033A
	v_pk_fma_f32 v[72:73], v[136:137], v[58:59], v[72:73]      // 000000006EA8: D3B04048 1D227588
	v_pk_fma_f32 v[74:75], v[138:139], v[58:59], v[74:75]      // 000000006EB0: D3B0404A 1D2A758A
	v_pk_fma_f32 v[88:89], v[152:153], v[58:59], v[88:89]      // 000000006EB8: D3B04058 1D627598
	v_pk_fma_f32 v[90:91], v[154:155], v[58:59], v[90:91]      // 000000006EC0: D3B0405A 1D6A759A
	v_mul_f32_dpp v58, v37, v32 row_newbcast:0 row_mask:0xf bank_mask:0xf// 000000006EC8: 0A7440FA FF015025
	v_mov_b32_e32 v59, v58                                     // 000000006ED0: 7E76033A
	v_pk_fma_f32 v[76:77], v[140:141], v[58:59], v[76:77]      // 000000006ED4: D3B0404C 1D32758C
	v_pk_fma_f32 v[78:79], v[142:143], v[58:59], v[78:79]      // 000000006EDC: D3B0404E 1D3A758E
	v_pk_fma_f32 v[92:93], v[156:157], v[58:59], v[92:93]      // 000000006EE4: D3B0405C 1D72759C
	v_pk_fma_f32 v[94:95], v[158:159], v[58:59], v[94:95]      // 000000006EEC: D3B0405E 1D7A759E
	s_waitcnt vmcnt(17)                                        // 000000006EF4: BF8C4F71
	v_mfma_f32_16x16x128_f8f6f4 v[128:131], a[16:23], a[136:143], 0// 000000006EF8: D3AD0080 1A031110
	v_mfma_f32_16x16x128_f8f6f4 v[132:135], a[16:23], a[152:159], 0// 000000006F00: D3AD0084 1A033110
	v_mfma_f32_16x16x128_f8f6f4 v[136:139], a[16:23], a[168:175], 0// 000000006F08: D3AD0088 1A035110
	v_mfma_f32_16x16x128_f8f6f4 v[140:143], a[16:23], a[184:191], 0// 000000006F10: D3AD008C 1A037110
	s_waitcnt vmcnt(15)                                        // 000000006F18: BF8C0F7F
	v_mfma_f32_16x16x128_f8f6f4 v[144:147], a[24:31], a[136:143], 0// 000000006F1C: D3AD0090 1A031118
	v_mfma_f32_16x16x128_f8f6f4 v[148:151], a[24:31], a[152:159], 0// 000000006F24: D3AD0094 1A033118
	v_mfma_f32_16x16x128_f8f6f4 v[152:155], a[24:31], a[168:175], 0// 000000006F2C: D3AD0098 1A035118
	v_mfma_f32_16x16x128_f8f6f4 v[156:159], a[24:31], a[184:191], 0// 000000006F34: D3AD009C 1A037118
	v_mul_f32_dpp v58, v37, v33 row_newbcast:2 row_mask:0xf bank_mask:0xf// 000000006F3C: 0A7442FA FF015225
	v_mov_b32_e32 v59, v58                                     // 000000006F44: 7E76033A
	v_pk_fma_f32 v[64:65], v[128:129], v[58:59], v[64:65]      // 000000006F48: D3B04040 1D027580
	v_pk_fma_f32 v[66:67], v[130:131], v[58:59], v[66:67]      // 000000006F50: D3B04042 1D0A7582
	v_pk_fma_f32 v[80:81], v[144:145], v[58:59], v[80:81]      // 000000006F58: D3B04050 1D427590
	v_pk_fma_f32 v[82:83], v[146:147], v[58:59], v[82:83]      // 000000006F60: D3B04052 1D4A7592
	v_mul_f32_dpp v58, v37, v34 row_newbcast:2 row_mask:0xf bank_mask:0xf// 000000006F68: 0A7444FA FF015225
	v_mov_b32_e32 v59, v58                                     // 000000006F70: 7E76033A
	v_pk_fma_f32 v[68:69], v[132:133], v[58:59], v[68:69]      // 000000006F74: D3B04044 1D127584
	v_pk_fma_f32 v[70:71], v[134:135], v[58:59], v[70:71]      // 000000006F7C: D3B04046 1D1A7586
	v_pk_fma_f32 v[84:85], v[148:149], v[58:59], v[84:85]      // 000000006F84: D3B04054 1D527594
	v_pk_fma_f32 v[86:87], v[150:151], v[58:59], v[86:87]      // 000000006F8C: D3B04056 1D5A7596
	v_mul_f32_dpp v58, v37, v35 row_newbcast:2 row_mask:0xf bank_mask:0xf// 000000006F94: 0A7446FA FF015225
	v_mov_b32_e32 v59, v58                                     // 000000006F9C: 7E76033A
	v_pk_fma_f32 v[72:73], v[136:137], v[58:59], v[72:73]      // 000000006FA0: D3B04048 1D227588
	v_pk_fma_f32 v[74:75], v[138:139], v[58:59], v[74:75]      // 000000006FA8: D3B0404A 1D2A758A
	v_pk_fma_f32 v[88:89], v[152:153], v[58:59], v[88:89]      // 000000006FB0: D3B04058 1D627598
	v_pk_fma_f32 v[90:91], v[154:155], v[58:59], v[90:91]      // 000000006FB8: D3B0405A 1D6A759A
	v_mul_f32_dpp v58, v37, v36 row_newbcast:2 row_mask:0xf bank_mask:0xf// 000000006FC0: 0A7448FA FF015225
	v_mov_b32_e32 v59, v58                                     // 000000006FC8: 7E76033A
	v_pk_fma_f32 v[76:77], v[140:141], v[58:59], v[76:77]      // 000000006FCC: D3B0404C 1D32758C
	v_pk_fma_f32 v[78:79], v[142:143], v[58:59], v[78:79]      // 000000006FD4: D3B0404E 1D3A758E
	v_pk_fma_f32 v[92:93], v[156:157], v[58:59], v[92:93]      // 000000006FDC: D3B0405C 1D72759C
	v_pk_fma_f32 v[94:95], v[158:159], v[58:59], v[94:95]      // 000000006FE4: D3B0405E 1D7A759E
	s_add_u32 s56, 0x100, s76                                  // 000000006FEC: 80384CFF 00000100
	s_cmp_lt_u32 s56, s77                                      // 000000006FF4: BF0A4D38
	s_cselect_b32 s4, s4, 0                                    // 000000006FF8: 85048004
	s_add_u32 s32, s4, s32                                     // 000000006FFC: 80202004
	s_addc_u32 s33, 0, s33                                     // 000000007000: 82212180
	s_waitcnt vmcnt(6)                                         // 000000007004: BF8C0F76
	s_barrier                                                  // 000000007008: BF8A0000
	v_mfma_f32_16x16x128_f8f6f4 v[128:131], a[32:39], a[128:135], 0// 00000000700C: D3AD0080 1A030120
	buffer_load_dword v37, v17, s[32:35], 0 offen              // 000000007014: E0501000 80082511
	buffer_load_dwordx4 a[0:3], v47, s[24:27], 0 offen         // 00000000701C: E05C1000 8086002F
	buffer_load_dwordx4 a[4:7], v47, s[24:27], 0 offen offset:1024// 000000007024: E05C1400 8086042F
	v_mfma_f32_16x16x128_f8f6f4 v[132:135], a[32:39], a[144:151], 0// 00000000702C: D3AD0084 1A032120
	v_mfma_f32_16x16x128_f8f6f4 v[136:139], a[32:39], a[160:167], 0// 000000007034: D3AD0088 1A034120
	buffer_load_dwordx4 a[8:11], v48, s[24:27], 0 offen        // 00000000703C: E05C1000 80860830
	buffer_load_dwordx4 a[12:15], v48, s[24:27], 0 offen offset:1024// 000000007044: E05C1400 80860C30
	v_mfma_f32_16x16x128_f8f6f4 v[140:143], a[32:39], a[176:183], 0// 00000000704C: D3AD008C 1A036120
	s_waitcnt vmcnt(9)                                         // 000000007054: BF8C0F79
	v_mfma_f32_16x16x128_f8f6f4 v[144:147], a[40:47], a[128:135], 0// 000000007058: D3AD0090 1A030128
	buffer_load_dwordx4 a[16:19], v47, s[24:27], 0 offen offset:2048// 000000007060: E05C1800 8086102F
	buffer_load_dwordx4 a[20:23], v47, s[24:27], 0 offen offset:3072// 000000007068: E05C1C00 8086142F
	v_mfma_f32_16x16x128_f8f6f4 v[148:151], a[40:47], a[144:151], 0// 000000007070: D3AD0094 1A032128
	v_mfma_f32_16x16x128_f8f6f4 v[152:155], a[40:47], a[160:167], 0// 000000007078: D3AD0098 1A034128
	buffer_load_dwordx4 a[24:27], v48, s[24:27], 0 offen offset:2048// 000000007080: E05C1800 80861830
	buffer_load_dwordx4 a[28:31], v48, s[24:27], 0 offen offset:3072// 000000007088: E05C1C00 80861C30
	v_mfma_f32_16x16x128_f8f6f4 v[156:159], a[40:47], a[176:183], 0// 000000007090: D3AD009C 1A036128
	v_mul_f32_dpp v58, v38, v29 row_newbcast:0 row_mask:0xf bank_mask:0xf// 000000007098: 0A743AFA FF015026
	v_mov_b32_e32 v59, v58                                     // 0000000070A0: 7E76033A
	v_pk_fma_f32 v[96:97], v[128:129], v[58:59], v[96:97]      // 0000000070A4: D3B04060 1D827580
	v_pk_fma_f32 v[98:99], v[130:131], v[58:59], v[98:99]      // 0000000070AC: D3B04062 1D8A7582
	v_pk_fma_f32 v[112:113], v[144:145], v[58:59], v[112:113]  // 0000000070B4: D3B04070 1DC27590
	v_pk_fma_f32 v[114:115], v[146:147], v[58:59], v[114:115]  // 0000000070BC: D3B04072 1DCA7592
	v_mul_f32_dpp v58, v38, v30 row_newbcast:0 row_mask:0xf bank_mask:0xf// 0000000070C4: 0A743CFA FF015026
	v_mov_b32_e32 v59, v58                                     // 0000000070CC: 7E76033A
	v_pk_fma_f32 v[100:101], v[132:133], v[58:59], v[100:101]  // 0000000070D0: D3B04064 1D927584
	v_pk_fma_f32 v[102:103], v[134:135], v[58:59], v[102:103]  // 0000000070D8: D3B04066 1D9A7586
	v_pk_fma_f32 v[116:117], v[148:149], v[58:59], v[116:117]  // 0000000070E0: D3B04074 1DD27594
	v_pk_fma_f32 v[118:119], v[150:151], v[58:59], v[118:119]  // 0000000070E8: D3B04076 1DDA7596
	v_mul_f32_dpp v58, v38, v31 row_newbcast:0 row_mask:0xf bank_mask:0xf// 0000000070F0: 0A743EFA FF015026
	v_mov_b32_e32 v59, v58                                     // 0000000070F8: 7E76033A
	v_pk_fma_f32 v[104:105], v[136:137], v[58:59], v[104:105]  // 0000000070FC: D3B04068 1DA27588
	v_pk_fma_f32 v[106:107], v[138:139], v[58:59], v[106:107]  // 000000007104: D3B0406A 1DAA758A
	v_pk_fma_f32 v[120:121], v[152:153], v[58:59], v[120:121]  // 00000000710C: D3B04078 1DE27598
	v_pk_fma_f32 v[122:123], v[154:155], v[58:59], v[122:123]  // 000000007114: D3B0407A 1DEA759A
	v_mul_f32_dpp v58, v38, v32 row_newbcast:0 row_mask:0xf bank_mask:0xf// 00000000711C: 0A7440FA FF015026
	v_mov_b32_e32 v59, v58                                     // 000000007124: 7E76033A
	v_pk_fma_f32 v[108:109], v[140:141], v[58:59], v[108:109]  // 000000007128: D3B0406C 1DB2758C
	v_pk_fma_f32 v[110:111], v[142:143], v[58:59], v[110:111]  // 000000007130: D3B0406E 1DBA758E
	v_pk_fma_f32 v[124:125], v[156:157], v[58:59], v[124:125]  // 000000007138: D3B0407C 1DF2759C
	v_pk_fma_f32 v[126:127], v[158:159], v[58:59], v[126:127]  // 000000007140: D3B0407E 1DFA759E
	s_waitcnt vmcnt(11)                                        // 000000007148: BF8C0F7B
	v_mfma_f32_16x16x128_f8f6f4 v[128:131], a[48:55], a[136:143], 0// 00000000714C: D3AD0080 1A031130
	v_mfma_f32_16x16x128_f8f6f4 v[132:135], a[48:55], a[152:159], 0// 000000007154: D3AD0084 1A033130
	ds_read_b128 a[64:67], v2                                  // 00000000715C: DBFE0000 40000002
	ds_read_b128 a[68:71], v2 offset:64                        // 000000007164: DBFE0040 44000002
	ds_read_b128 a[72:75], v2 offset:4224                      // 00000000716C: DBFE1080 48000002
	ds_read_b128 a[76:79], v2 offset:4288                      // 000000007174: DBFE10C0 4C000002
	ds_read_b32 v21, v3 offset:8448                            // 00000000717C: D86C2100 15000003
	ds_read_b32 v22, v3 offset:8704                            // 000000007184: D86C2200 16000003
	v_mfma_f32_16x16x128_f8f6f4 v[136:139], a[48:55], a[168:175], 0// 00000000718C: D3AD0088 1A035130
	v_mfma_f32_16x16x128_f8f6f4 v[140:143], a[48:55], a[184:191], 0// 000000007194: D3AD008C 1A037130
	ds_read_b128 a[80:83], v2 offset:512                       // 00000000719C: DBFE0200 50000002
	ds_read_b128 a[84:87], v2 offset:576                       // 0000000071A4: DBFE0240 54000002
	ds_read_b128 a[88:91], v2 offset:4736                      // 0000000071AC: DBFE1280 58000002
	ds_read_b128 a[92:95], v2 offset:4800                      // 0000000071B4: DBFE12C0 5C000002
	ds_read_b32 v23, v3 offset:27392                           // 0000000071BC: D86C6B00 17000003
	ds_read_b32 v24, v3 offset:27648                           // 0000000071C4: D86C6C00 18000003
	s_waitcnt vmcnt(9)                                         // 0000000071CC: BF8C0F79
	v_mfma_f32_16x16x128_f8f6f4 v[144:147], a[56:63], a[136:143], 0// 0000000071D0: D3AD0090 1A031138
	v_mfma_f32_16x16x128_f8f6f4 v[148:151], a[56:63], a[152:159], 0// 0000000071D8: D3AD0094 1A033138
	ds_read_b128 a[96:99], v2 offset:18944                     // 0000000071E0: DBFE4A00 60000002
	ds_read_b128 a[100:103], v2 offset:19008                   // 0000000071E8: DBFE4A40 64000002
	ds_read_b128 a[104:107], v2 offset:23168                   // 0000000071F0: DBFE5A80 68000002
	ds_read_b128 a[108:111], v2 offset:23232                   // 0000000071F8: DBFE5AC0 6C000002
	ds_read_b32 v25, v3 offset:8960                            // 000000007200: D86C2300 19000003
	ds_read_b32 v26, v3 offset:9216                            // 000000007208: D86C2400 1A000003
	v_mfma_f32_16x16x128_f8f6f4 v[152:155], a[56:63], a[168:175], 0// 000000007210: D3AD0098 1A035138
	v_mfma_f32_16x16x128_f8f6f4 v[156:159], a[56:63], a[184:191], 0// 000000007218: D3AD009C 1A037138
	ds_read_b128 a[112:115], v2 offset:19456                   // 000000007220: DBFE4C00 70000002
	ds_read_b128 a[116:119], v2 offset:19520                   // 000000007228: DBFE4C40 74000002
	ds_read_b128 a[120:123], v2 offset:23680                   // 000000007230: DBFE5C80 78000002
	ds_read_b128 a[124:127], v2 offset:23744                   // 000000007238: DBFE5CC0 7C000002
	ds_read_b32 v27, v3 offset:27904                           // 000000007240: D86C6D00 1B000003
	ds_read_b32 v28, v3 offset:28160                           // 000000007248: D86C6E00 1C000003
	v_mul_f32_dpp v58, v38, v33 row_newbcast:2 row_mask:0xf bank_mask:0xf// 000000007250: 0A7442FA FF015226
	v_mov_b32_e32 v59, v58                                     // 000000007258: 7E76033A
	v_pk_fma_f32 v[96:97], v[128:129], v[58:59], v[96:97]      // 00000000725C: D3B04060 1D827580
	v_pk_fma_f32 v[98:99], v[130:131], v[58:59], v[98:99]      // 000000007264: D3B04062 1D8A7582
	v_pk_fma_f32 v[112:113], v[144:145], v[58:59], v[112:113]  // 00000000726C: D3B04070 1DC27590
	v_pk_fma_f32 v[114:115], v[146:147], v[58:59], v[114:115]  // 000000007274: D3B04072 1DCA7592
	v_mul_f32_dpp v58, v38, v34 row_newbcast:2 row_mask:0xf bank_mask:0xf// 00000000727C: 0A7444FA FF015226
	v_mov_b32_e32 v59, v58                                     // 000000007284: 7E76033A
	v_pk_fma_f32 v[100:101], v[132:133], v[58:59], v[100:101]  // 000000007288: D3B04064 1D927584
	v_pk_fma_f32 v[102:103], v[134:135], v[58:59], v[102:103]  // 000000007290: D3B04066 1D9A7586
	v_pk_fma_f32 v[116:117], v[148:149], v[58:59], v[116:117]  // 000000007298: D3B04074 1DD27594
	v_pk_fma_f32 v[118:119], v[150:151], v[58:59], v[118:119]  // 0000000072A0: D3B04076 1DDA7596
	v_mul_f32_dpp v58, v38, v35 row_newbcast:2 row_mask:0xf bank_mask:0xf// 0000000072A8: 0A7446FA FF015226
	v_mov_b32_e32 v59, v58                                     // 0000000072B0: 7E76033A
	v_pk_fma_f32 v[104:105], v[136:137], v[58:59], v[104:105]  // 0000000072B4: D3B04068 1DA27588
	v_pk_fma_f32 v[106:107], v[138:139], v[58:59], v[106:107]  // 0000000072BC: D3B0406A 1DAA758A
	v_pk_fma_f32 v[120:121], v[152:153], v[58:59], v[120:121]  // 0000000072C4: D3B04078 1DE27598
	v_pk_fma_f32 v[122:123], v[154:155], v[58:59], v[122:123]  // 0000000072CC: D3B0407A 1DEA759A
	v_mul_f32_dpp v58, v38, v36 row_newbcast:2 row_mask:0xf bank_mask:0xf// 0000000072D4: 0A7448FA FF015226
	v_mov_b32_e32 v59, v58                                     // 0000000072DC: 7E76033A
	v_pk_fma_f32 v[108:109], v[140:141], v[58:59], v[108:109]  // 0000000072E0: D3B0406C 1DB2758C
	v_pk_fma_f32 v[110:111], v[142:143], v[58:59], v[110:111]  // 0000000072E8: D3B0406E 1DBA758E
	v_pk_fma_f32 v[124:125], v[156:157], v[58:59], v[124:125]  // 0000000072F0: D3B0407C 1DF2759C
	v_pk_fma_f32 v[126:127], v[158:159], v[58:59], v[126:127]  // 0000000072F8: D3B0407E 1DFA759E
	s_add_u32 s56, 0x200, s76                                  // 000000007300: 80384CFF 00000200
	s_cmp_lt_u32 s56, s77                                      // 000000007308: BF0A4D38
	s_cselect_b32 s53, s53, 0                                  // 00000000730C: 85358035
	s_cselect_b32 s3, s3, 0                                    // 000000007310: 85038003
	s_add_u32 s56, 0x200, s76                                  // 000000007314: 80384CFF 00000200
	s_cmp_lt_u32 s56, s77                                      // 00000000731C: BF0A4D38
	s_cselect_b32 s54, s54, 0                                  // 000000007320: 85368036
	s_add_u32 s20, s53, s20                                    // 000000007324: 80141435
	s_addc_u32 s21, 0, s21                                     // 000000007328: 82151580
	s_add_u32 s28, s3, s28                                     // 00000000732C: 801C1C03
	s_addc_u32 s29, 0, s29                                     // 000000007330: 821D1D80
	s_add_u32 s24, s54, s24                                    // 000000007334: 80181836
	s_addc_u32 s25, 0, s25                                     // 000000007338: 82191980
	s_add_u32 s96, s94, s96                                    // 00000000733C: 8060605E
	s_addc_u32 s97, 0, s97                                     // 000000007340: 82616180
	s_addk_i32 s76, 0x100                                      // 000000007344: B74C0100
	s_cmp_lt_i32 s76, s77                                      // 000000007348: BF044D4C
	s_cbranch_scc0 label_1155                                  // 00000000734C: BF840001
	s_branch label_0E56                                        // 000000007350: BF82FD01

0000000000007354 <label_1155>:
	s_mov_b32 s20, 0                                           // 000000007354: BE940080
	s_cmp_lt_u32 s93, s62                                      // 000000007358: BF0A3E5D
	s_cselect_b32 s56, 0, 1                                    // 00000000735C: 85388180
	s_lshl1_add_u32 s20, s20, s56                              // 000000007360: 97143814
	s_cmp_lt_u32 s92, s62                                      // 000000007364: BF0A3E5C
	s_cselect_b32 s56, 0, 1                                    // 000000007368: 85388180
	s_lshl1_add_u32 s20, s20, s56                              // 00000000736C: 97143814
	s_cmp_lt_u32 s91, s62                                      // 000000007370: BF0A3E5B
	s_cselect_b32 s56, 0, 1                                    // 000000007374: 85388180
	s_lshl1_add_u32 s20, s20, s56                              // 000000007378: 97143814
	s_cmp_lt_u32 s90, s62                                      // 00000000737C: BF0A3E5A
	s_cselect_b32 s56, 0, 1                                    // 000000007380: 85388180
	s_lshl1_add_u32 s20, s20, s56                              // 000000007384: 97143814
	s_cmp_lt_u32 s89, s62                                      // 000000007388: BF0A3E59
	s_cselect_b32 s56, 0, 1                                    // 00000000738C: 85388180
	s_lshl1_add_u32 s20, s20, s56                              // 000000007390: 97143814
	s_cmp_lt_u32 s88, s62                                      // 000000007394: BF0A3E58
	s_cselect_b32 s56, 0, 1                                    // 000000007398: 85388180
	s_lshl1_add_u32 s20, s20, s56                              // 00000000739C: 97143814
	s_cmp_lt_u32 s87, s62                                      // 0000000073A0: BF0A3E57
	s_cselect_b32 s56, 0, 1                                    // 0000000073A4: 85388180
	s_lshl1_add_u32 s20, s20, s56                              // 0000000073A8: 97143814
	s_cmp_lt_u32 s86, s62                                      // 0000000073AC: BF0A3E56
	s_cselect_b32 s56, 0, 1                                    // 0000000073B0: 85388180
	s_lshl1_add_u32 s20, s20, s56                              // 0000000073B4: 97143814
	s_cmp_lt_u32 s85, s62                                      // 0000000073B8: BF0A3E55
	s_cselect_b32 s56, 0, 1                                    // 0000000073BC: 85388180
	s_lshl1_add_u32 s20, s20, s56                              // 0000000073C0: 97143814
	s_cmp_lt_u32 s84, s62                                      // 0000000073C4: BF0A3E54
	s_cselect_b32 s56, 0, 1                                    // 0000000073C8: 85388180
	s_lshl1_add_u32 s20, s20, s56                              // 0000000073CC: 97143814
	s_cmp_lt_u32 s83, s62                                      // 0000000073D0: BF0A3E53
	s_cselect_b32 s56, 0, 1                                    // 0000000073D4: 85388180
	s_lshl1_add_u32 s20, s20, s56                              // 0000000073D8: 97143814
	s_cmp_lt_u32 s82, s62                                      // 0000000073DC: BF0A3E52
	s_cselect_b32 s56, 0, 1                                    // 0000000073E0: 85388180
	s_lshl1_add_u32 s20, s20, s56                              // 0000000073E4: 97143814
	s_cmp_lt_u32 s81, s62                                      // 0000000073E8: BF0A3E51
	s_cselect_b32 s56, 0, 1                                    // 0000000073EC: 85388180
	s_lshl1_add_u32 s20, s20, s56                              // 0000000073F0: 97143814
	s_cmp_lt_u32 s80, s62                                      // 0000000073F4: BF0A3E50
	s_cselect_b32 s56, 0, 1                                    // 0000000073F8: 85388180
	s_lshl1_add_u32 s20, s20, s56                              // 0000000073FC: 97143814
	s_cmp_lt_u32 s79, s62                                      // 000000007400: BF0A3E4F
	s_cselect_b32 s56, 0, 1                                    // 000000007404: 85388180
	s_lshl1_add_u32 s20, s20, s56                              // 000000007408: 97143814
	s_cmp_lt_u32 s78, s62                                      // 00000000740C: BF0A3E4E
	s_cselect_b32 s56, 0, 1                                    // 000000007410: 85388180
	s_lshl1_add_u32 s20, s20, s56                              // 000000007414: 97143814
	s_waitcnt vmcnt(4)                                         // 000000007418: BF8C0F74
	buffer_load_dwordx4 a[0:3], v49, s[12:15], 0 offen         // 00000000741C: E05C1000 80830031
	v_mul_f32_e32 v58, v64, v64                                // 000000007424: 0A748140
	v_mul_f32_e32 v59, v65, v65                                // 000000007428: 0A768341
	v_mul_f32_e32 v60, v66, v66                                // 00000000742C: 0A788542
	v_mul_f32_e32 v61, v67, v67                                // 000000007430: 0A7A8743
	s_mov_b32 s3, 0xbd92220c                                   // 000000007434: BE8300FF BD92220C
	v_fma_f32 v58, v58, s3, v1                                 // 00000000743C: D1CB003A 0404073A
	v_fma_f32 v59, v59, s3, v1                                 // 000000007444: D1CB003B 0404073B
	v_fma_f32 v60, v60, s3, v1                                 // 00000000744C: D1CB003C 0404073C
	v_fma_f32 v61, v61, s3, v1                                 // 000000007454: D1CB003D 0404073D
	v_mul_f32_e32 v58, v58, v64                                // 00000000745C: 0A74813A
	v_mul_f32_e32 v59, v59, v65                                // 000000007460: 0A76833B
	v_mul_f32_e32 v60, v60, v66                                // 000000007464: 0A78853C
	v_mul_f32_e32 v61, v61, v67                                // 000000007468: 0A7A873D
	v_mul_f32_e64 v58, v58, s6                                 // 00000000746C: D105003A 00000D3A
	v_mul_f32_e64 v59, v59, s6                                 // 000000007474: D105003B 00000D3B
	v_mul_f32_e64 v60, v60, s6                                 // 00000000747C: D105003C 00000D3C
	v_mul_f32_e64 v61, v61, s6                                 // 000000007484: D105003D 00000D3D
	v_exp_f32_e32 v58, v58                                     // 00000000748C: 7E74413A
	v_exp_f32_e32 v59, v59                                     // 000000007490: 7E76413B
	v_exp_f32_e32 v60, v60                                     // 000000007494: 7E78413C
	v_exp_f32_e32 v61, v61                                     // 000000007498: 7E7A413D
	buffer_load_dwordx4 a[4:7], v49, s[12:15], 0 offen offset:1024// 00000000749C: E05C1400 80830431
	v_add_f32_e64 v58, v58, 1.0                                // 0000000074A4: D101003A 0001E53A
	v_add_f32_e64 v59, v59, 1.0                                // 0000000074AC: D101003B 0001E53B
	v_add_f32_e64 v60, v60, 1.0                                // 0000000074B4: D101003C 0001E53C
	v_add_f32_e64 v61, v61, 1.0                                // 0000000074BC: D101003D 0001E53D
	v_rcp_f32_e32 v58, v58                                     // 0000000074C4: 7E74453A
	v_rcp_f32_e32 v59, v59                                     // 0000000074C8: 7E76453B
	v_rcp_f32_e32 v60, v60                                     // 0000000074CC: 7E78453C
	v_rcp_f32_e32 v61, v61                                     // 0000000074D0: 7E7A453D
	v_mul_f32_e32 v64, v64, v58                                // 0000000074D4: 0A807540
	v_mul_f32_e32 v65, v65, v59                                // 0000000074D8: 0A827741
	v_mul_f32_e32 v66, v66, v60                                // 0000000074DC: 0A847942
	v_mul_f32_e32 v67, v67, v61                                // 0000000074E0: 0A867B43
	v_mul_f32_e32 v64, v64, v96                                // 0000000074E4: 0A80C140
	v_mul_f32_e32 v65, v65, v97                                // 0000000074E8: 0A82C341
	v_mul_f32_e32 v66, v66, v98                                // 0000000074EC: 0A84C542
	v_mul_f32_e32 v67, v67, v99                                // 0000000074F0: 0A86C743
	buffer_load_dwordx4 a[8:11], v50, s[12:15], 0 offen        // 0000000074F4: E05C1000 80830832
	v_mul_f32_e32 v58, v68, v68                                // 0000000074FC: 0A748944
	v_mul_f32_e32 v59, v69, v69                                // 000000007500: 0A768B45
	v_mul_f32_e32 v60, v70, v70                                // 000000007504: 0A788D46
	v_mul_f32_e32 v61, v71, v71                                // 000000007508: 0A7A8F47
	s_mov_b32 s3, 0xbd92220c                                   // 00000000750C: BE8300FF BD92220C
	v_fma_f32 v58, v58, s3, v1                                 // 000000007514: D1CB003A 0404073A
	v_fma_f32 v59, v59, s3, v1                                 // 00000000751C: D1CB003B 0404073B
	v_fma_f32 v60, v60, s3, v1                                 // 000000007524: D1CB003C 0404073C
	v_fma_f32 v61, v61, s3, v1                                 // 00000000752C: D1CB003D 0404073D
	v_mul_f32_e32 v58, v58, v68                                // 000000007534: 0A74893A
	v_mul_f32_e32 v59, v59, v69                                // 000000007538: 0A768B3B
	v_mul_f32_e32 v60, v60, v70                                // 00000000753C: 0A788D3C
	v_mul_f32_e32 v61, v61, v71                                // 000000007540: 0A7A8F3D
	v_mul_f32_e64 v58, v58, s6                                 // 000000007544: D105003A 00000D3A
	v_mul_f32_e64 v59, v59, s6                                 // 00000000754C: D105003B 00000D3B
	v_mul_f32_e64 v60, v60, s6                                 // 000000007554: D105003C 00000D3C
	v_mul_f32_e64 v61, v61, s6                                 // 00000000755C: D105003D 00000D3D
	v_exp_f32_e32 v58, v58                                     // 000000007564: 7E74413A
	v_exp_f32_e32 v59, v59                                     // 000000007568: 7E76413B
	v_exp_f32_e32 v60, v60                                     // 00000000756C: 7E78413C
	v_exp_f32_e32 v61, v61                                     // 000000007570: 7E7A413D
	buffer_load_dwordx4 a[12:15], v50, s[12:15], 0 offen offset:1024// 000000007574: E05C1400 80830C32
	v_add_f32_e64 v58, v58, 1.0                                // 00000000757C: D101003A 0001E53A
	v_add_f32_e64 v59, v59, 1.0                                // 000000007584: D101003B 0001E53B
	v_add_f32_e64 v60, v60, 1.0                                // 00000000758C: D101003C 0001E53C
	v_add_f32_e64 v61, v61, 1.0                                // 000000007594: D101003D 0001E53D
	v_rcp_f32_e32 v58, v58                                     // 00000000759C: 7E74453A
	v_rcp_f32_e32 v59, v59                                     // 0000000075A0: 7E76453B
	v_rcp_f32_e32 v60, v60                                     // 0000000075A4: 7E78453C
	v_rcp_f32_e32 v61, v61                                     // 0000000075A8: 7E7A453D
	v_mul_f32_e32 v68, v68, v58                                // 0000000075AC: 0A887544
	v_mul_f32_e32 v69, v69, v59                                // 0000000075B0: 0A8A7745
	v_mul_f32_e32 v70, v70, v60                                // 0000000075B4: 0A8C7946
	v_mul_f32_e32 v71, v71, v61                                // 0000000075B8: 0A8E7B47
	v_mul_f32_e32 v68, v68, v100                               // 0000000075BC: 0A88C944
	v_mul_f32_e32 v69, v69, v101                               // 0000000075C0: 0A8ACB45
	v_mul_f32_e32 v70, v70, v102                               // 0000000075C4: 0A8CCD46
	v_mul_f32_e32 v71, v71, v103                               // 0000000075C8: 0A8ECF47
	s_waitcnt vmcnt(4)                                         // 0000000075CC: BF8C0F74
	buffer_load_dwordx4 a[16:19], v51, s[12:15], 0 offen       // 0000000075D0: E05C1000 80831033
	v_mul_f32_e32 v58, v72, v72                                // 0000000075D8: 0A749148
	v_mul_f32_e32 v59, v73, v73                                // 0000000075DC: 0A769349
	v_mul_f32_e32 v60, v74, v74                                // 0000000075E0: 0A78954A
	v_mul_f32_e32 v61, v75, v75                                // 0000000075E4: 0A7A974B
	s_mov_b32 s3, 0xbd92220c                                   // 0000000075E8: BE8300FF BD92220C
	v_fma_f32 v58, v58, s3, v1                                 // 0000000075F0: D1CB003A 0404073A
	v_fma_f32 v59, v59, s3, v1                                 // 0000000075F8: D1CB003B 0404073B
	v_fma_f32 v60, v60, s3, v1                                 // 000000007600: D1CB003C 0404073C
	v_fma_f32 v61, v61, s3, v1                                 // 000000007608: D1CB003D 0404073D
	v_mul_f32_e32 v58, v58, v72                                // 000000007610: 0A74913A
	v_mul_f32_e32 v59, v59, v73                                // 000000007614: 0A76933B
	v_mul_f32_e32 v60, v60, v74                                // 000000007618: 0A78953C
	v_mul_f32_e32 v61, v61, v75                                // 00000000761C: 0A7A973D
	v_mul_f32_e64 v58, v58, s6                                 // 000000007620: D105003A 00000D3A
	v_mul_f32_e64 v59, v59, s6                                 // 000000007628: D105003B 00000D3B
	v_mul_f32_e64 v60, v60, s6                                 // 000000007630: D105003C 00000D3C
	v_mul_f32_e64 v61, v61, s6                                 // 000000007638: D105003D 00000D3D
	v_exp_f32_e32 v58, v58                                     // 000000007640: 7E74413A
	v_exp_f32_e32 v59, v59                                     // 000000007644: 7E76413B
	v_exp_f32_e32 v60, v60                                     // 000000007648: 7E78413C
	v_exp_f32_e32 v61, v61                                     // 00000000764C: 7E7A413D
	buffer_load_dwordx4 a[20:23], v51, s[12:15], 0 offen offset:1024// 000000007650: E05C1400 80831433
	v_add_f32_e64 v58, v58, 1.0                                // 000000007658: D101003A 0001E53A
	v_add_f32_e64 v59, v59, 1.0                                // 000000007660: D101003B 0001E53B
	v_add_f32_e64 v60, v60, 1.0                                // 000000007668: D101003C 0001E53C
	v_add_f32_e64 v61, v61, 1.0                                // 000000007670: D101003D 0001E53D
	v_rcp_f32_e32 v58, v58                                     // 000000007678: 7E74453A
	v_rcp_f32_e32 v59, v59                                     // 00000000767C: 7E76453B
	v_rcp_f32_e32 v60, v60                                     // 000000007680: 7E78453C
	v_rcp_f32_e32 v61, v61                                     // 000000007684: 7E7A453D
	v_mul_f32_e32 v72, v72, v58                                // 000000007688: 0A907548
	v_mul_f32_e32 v73, v73, v59                                // 00000000768C: 0A927749
	v_mul_f32_e32 v74, v74, v60                                // 000000007690: 0A94794A
	v_mul_f32_e32 v75, v75, v61                                // 000000007694: 0A967B4B
	v_mul_f32_e32 v72, v72, v104                               // 000000007698: 0A90D148
	v_mul_f32_e32 v73, v73, v105                               // 00000000769C: 0A92D349
	v_mul_f32_e32 v74, v74, v106                               // 0000000076A0: 0A94D54A
	v_mul_f32_e32 v75, v75, v107                               // 0000000076A4: 0A96D74B
	buffer_load_dwordx4 a[24:27], v52, s[12:15], 0 offen       // 0000000076A8: E05C1000 80831834
	v_mul_f32_e32 v58, v76, v76                                // 0000000076B0: 0A74994C
	v_mul_f32_e32 v59, v77, v77                                // 0000000076B4: 0A769B4D
	v_mul_f32_e32 v60, v78, v78                                // 0000000076B8: 0A789D4E
	v_mul_f32_e32 v61, v79, v79                                // 0000000076BC: 0A7A9F4F
	s_mov_b32 s3, 0xbd92220c                                   // 0000000076C0: BE8300FF BD92220C
	v_fma_f32 v58, v58, s3, v1                                 // 0000000076C8: D1CB003A 0404073A
	v_fma_f32 v59, v59, s3, v1                                 // 0000000076D0: D1CB003B 0404073B
	v_fma_f32 v60, v60, s3, v1                                 // 0000000076D8: D1CB003C 0404073C
	v_fma_f32 v61, v61, s3, v1                                 // 0000000076E0: D1CB003D 0404073D
	v_mul_f32_e32 v58, v58, v76                                // 0000000076E8: 0A74993A
	v_mul_f32_e32 v59, v59, v77                                // 0000000076EC: 0A769B3B
	v_mul_f32_e32 v60, v60, v78                                // 0000000076F0: 0A789D3C
	v_mul_f32_e32 v61, v61, v79                                // 0000000076F4: 0A7A9F3D
	v_mul_f32_e64 v58, v58, s6                                 // 0000000076F8: D105003A 00000D3A
	v_mul_f32_e64 v59, v59, s6                                 // 000000007700: D105003B 00000D3B
	v_mul_f32_e64 v60, v60, s6                                 // 000000007708: D105003C 00000D3C
	v_mul_f32_e64 v61, v61, s6                                 // 000000007710: D105003D 00000D3D
	v_exp_f32_e32 v58, v58                                     // 000000007718: 7E74413A
	v_exp_f32_e32 v59, v59                                     // 00000000771C: 7E76413B
	v_exp_f32_e32 v60, v60                                     // 000000007720: 7E78413C
	v_exp_f32_e32 v61, v61                                     // 000000007724: 7E7A413D
	buffer_load_dwordx4 a[28:31], v52, s[12:15], 0 offen offset:1024// 000000007728: E05C1400 80831C34
	v_add_f32_e64 v58, v58, 1.0                                // 000000007730: D101003A 0001E53A
	v_add_f32_e64 v59, v59, 1.0                                // 000000007738: D101003B 0001E53B
	v_add_f32_e64 v60, v60, 1.0                                // 000000007740: D101003C 0001E53C
	v_add_f32_e64 v61, v61, 1.0                                // 000000007748: D101003D 0001E53D
	v_rcp_f32_e32 v58, v58                                     // 000000007750: 7E74453A
	v_rcp_f32_e32 v59, v59                                     // 000000007754: 7E76453B
	v_rcp_f32_e32 v60, v60                                     // 000000007758: 7E78453C
	v_rcp_f32_e32 v61, v61                                     // 00000000775C: 7E7A453D
	v_mul_f32_e32 v76, v76, v58                                // 000000007760: 0A98754C
	v_mul_f32_e32 v77, v77, v59                                // 000000007764: 0A9A774D
	v_mul_f32_e32 v78, v78, v60                                // 000000007768: 0A9C794E
	v_mul_f32_e32 v79, v79, v61                                // 00000000776C: 0A9E7B4F
	v_mul_f32_e32 v76, v76, v108                               // 000000007770: 0A98D94C
	v_mul_f32_e32 v77, v77, v109                               // 000000007774: 0A9ADB4D
	v_mul_f32_e32 v78, v78, v110                               // 000000007778: 0A9CDD4E
	v_mul_f32_e32 v79, v79, v111                               // 00000000777C: 0A9EDF4F
	s_waitcnt vmcnt(4)                                         // 000000007780: BF8C0F74
	v_mul_f32_e32 v58, v80, v80                                // 000000007784: 0A74A150
	v_mul_f32_e32 v59, v81, v81                                // 000000007788: 0A76A351
	v_mul_f32_e32 v60, v82, v82                                // 00000000778C: 0A78A552
	v_mul_f32_e32 v61, v83, v83                                // 000000007790: 0A7AA753
	s_mov_b32 s3, 0xbd92220c                                   // 000000007794: BE8300FF BD92220C
	v_fma_f32 v58, v58, s3, v1                                 // 00000000779C: D1CB003A 0404073A
	v_fma_f32 v59, v59, s3, v1                                 // 0000000077A4: D1CB003B 0404073B
	v_fma_f32 v60, v60, s3, v1                                 // 0000000077AC: D1CB003C 0404073C
	v_fma_f32 v61, v61, s3, v1                                 // 0000000077B4: D1CB003D 0404073D
	v_mul_f32_e32 v58, v58, v80                                // 0000000077BC: 0A74A13A
	v_mul_f32_e32 v59, v59, v81                                // 0000000077C0: 0A76A33B
	v_mul_f32_e32 v60, v60, v82                                // 0000000077C4: 0A78A53C
	v_mul_f32_e32 v61, v61, v83                                // 0000000077C8: 0A7AA73D
	v_mul_f32_e64 v58, v58, s6                                 // 0000000077CC: D105003A 00000D3A
	v_mul_f32_e64 v59, v59, s6                                 // 0000000077D4: D105003B 00000D3B
	v_mul_f32_e64 v60, v60, s6                                 // 0000000077DC: D105003C 00000D3C
	v_mul_f32_e64 v61, v61, s6                                 // 0000000077E4: D105003D 00000D3D
	v_exp_f32_e32 v58, v58                                     // 0000000077EC: 7E74413A
	v_exp_f32_e32 v59, v59                                     // 0000000077F0: 7E76413B
	v_exp_f32_e32 v60, v60                                     // 0000000077F4: 7E78413C
	v_exp_f32_e32 v61, v61                                     // 0000000077F8: 7E7A413D
	v_add_f32_e64 v58, v58, 1.0                                // 0000000077FC: D101003A 0001E53A
	v_add_f32_e64 v59, v59, 1.0                                // 000000007804: D101003B 0001E53B
	v_add_f32_e64 v60, v60, 1.0                                // 00000000780C: D101003C 0001E53C
	v_add_f32_e64 v61, v61, 1.0                                // 000000007814: D101003D 0001E53D
	v_rcp_f32_e32 v58, v58                                     // 00000000781C: 7E74453A
	v_rcp_f32_e32 v59, v59                                     // 000000007820: 7E76453B
	v_rcp_f32_e32 v60, v60                                     // 000000007824: 7E78453C
	v_rcp_f32_e32 v61, v61                                     // 000000007828: 7E7A453D
	v_mul_f32_e32 v80, v80, v58                                // 00000000782C: 0AA07550
	v_mul_f32_e32 v81, v81, v59                                // 000000007830: 0AA27751
	v_mul_f32_e32 v82, v82, v60                                // 000000007834: 0AA47952
	v_mul_f32_e32 v83, v83, v61                                // 000000007838: 0AA67B53
	v_mul_f32_e32 v80, v80, v112                               // 00000000783C: 0AA0E150
	v_mul_f32_e32 v81, v81, v113                               // 000000007840: 0AA2E351
	v_mul_f32_e32 v82, v82, v114                               // 000000007844: 0AA4E552
	v_mul_f32_e32 v83, v83, v115                               // 000000007848: 0AA6E753
	v_mul_f32_e32 v58, v84, v84                                // 00000000784C: 0A74A954
	v_mul_f32_e32 v59, v85, v85                                // 000000007850: 0A76AB55
	v_mul_f32_e32 v60, v86, v86                                // 000000007854: 0A78AD56
	v_mul_f32_e32 v61, v87, v87                                // 000000007858: 0A7AAF57
	s_mov_b32 s3, 0xbd92220c                                   // 00000000785C: BE8300FF BD92220C
	v_fma_f32 v58, v58, s3, v1                                 // 000000007864: D1CB003A 0404073A
	v_fma_f32 v59, v59, s3, v1                                 // 00000000786C: D1CB003B 0404073B
	v_fma_f32 v60, v60, s3, v1                                 // 000000007874: D1CB003C 0404073C
	v_fma_f32 v61, v61, s3, v1                                 // 00000000787C: D1CB003D 0404073D
	v_mul_f32_e32 v58, v58, v84                                // 000000007884: 0A74A93A
	v_mul_f32_e32 v59, v59, v85                                // 000000007888: 0A76AB3B
	v_mul_f32_e32 v60, v60, v86                                // 00000000788C: 0A78AD3C
	v_mul_f32_e32 v61, v61, v87                                // 000000007890: 0A7AAF3D
	v_mul_f32_e64 v58, v58, s6                                 // 000000007894: D105003A 00000D3A
	v_mul_f32_e64 v59, v59, s6                                 // 00000000789C: D105003B 00000D3B
	v_mul_f32_e64 v60, v60, s6                                 // 0000000078A4: D105003C 00000D3C
	v_mul_f32_e64 v61, v61, s6                                 // 0000000078AC: D105003D 00000D3D
	v_exp_f32_e32 v58, v58                                     // 0000000078B4: 7E74413A
	v_exp_f32_e32 v59, v59                                     // 0000000078B8: 7E76413B
	v_exp_f32_e32 v60, v60                                     // 0000000078BC: 7E78413C
	v_exp_f32_e32 v61, v61                                     // 0000000078C0: 7E7A413D
	v_add_f32_e64 v58, v58, 1.0                                // 0000000078C4: D101003A 0001E53A
	v_add_f32_e64 v59, v59, 1.0                                // 0000000078CC: D101003B 0001E53B
	v_add_f32_e64 v60, v60, 1.0                                // 0000000078D4: D101003C 0001E53C
	v_add_f32_e64 v61, v61, 1.0                                // 0000000078DC: D101003D 0001E53D
	v_rcp_f32_e32 v58, v58                                     // 0000000078E4: 7E74453A
	v_rcp_f32_e32 v59, v59                                     // 0000000078E8: 7E76453B
	v_rcp_f32_e32 v60, v60                                     // 0000000078EC: 7E78453C
	v_rcp_f32_e32 v61, v61                                     // 0000000078F0: 7E7A453D
	v_mul_f32_e32 v84, v84, v58                                // 0000000078F4: 0AA87554
	v_mul_f32_e32 v85, v85, v59                                // 0000000078F8: 0AAA7755
	v_mul_f32_e32 v86, v86, v60                                // 0000000078FC: 0AAC7956
	v_mul_f32_e32 v87, v87, v61                                // 000000007900: 0AAE7B57
	v_mul_f32_e32 v84, v84, v116                               // 000000007904: 0AA8E954
	v_mul_f32_e32 v85, v85, v117                               // 000000007908: 0AAAEB55
	v_mul_f32_e32 v86, v86, v118                               // 00000000790C: 0AACED56
	v_mul_f32_e32 v87, v87, v119                               // 000000007910: 0AAEEF57
	s_waitcnt vmcnt(4)                                         // 000000007914: BF8C0F74
	v_mul_f32_e32 v58, v88, v88                                // 000000007918: 0A74B158
	v_mul_f32_e32 v59, v89, v89                                // 00000000791C: 0A76B359
	v_mul_f32_e32 v60, v90, v90                                // 000000007920: 0A78B55A
	v_mul_f32_e32 v61, v91, v91                                // 000000007924: 0A7AB75B
	s_mov_b32 s3, 0xbd92220c                                   // 000000007928: BE8300FF BD92220C
	v_fma_f32 v58, v58, s3, v1                                 // 000000007930: D1CB003A 0404073A
	v_fma_f32 v59, v59, s3, v1                                 // 000000007938: D1CB003B 0404073B
	v_fma_f32 v60, v60, s3, v1                                 // 000000007940: D1CB003C 0404073C
	v_fma_f32 v61, v61, s3, v1                                 // 000000007948: D1CB003D 0404073D
	v_mul_f32_e32 v58, v58, v88                                // 000000007950: 0A74B13A
	v_mul_f32_e32 v59, v59, v89                                // 000000007954: 0A76B33B
	v_mul_f32_e32 v60, v60, v90                                // 000000007958: 0A78B53C
	v_mul_f32_e32 v61, v61, v91                                // 00000000795C: 0A7AB73D
	v_mul_f32_e64 v58, v58, s6                                 // 000000007960: D105003A 00000D3A
	v_mul_f32_e64 v59, v59, s6                                 // 000000007968: D105003B 00000D3B
	v_mul_f32_e64 v60, v60, s6                                 // 000000007970: D105003C 00000D3C
	v_mul_f32_e64 v61, v61, s6                                 // 000000007978: D105003D 00000D3D
	v_exp_f32_e32 v58, v58                                     // 000000007980: 7E74413A
	v_exp_f32_e32 v59, v59                                     // 000000007984: 7E76413B
	v_exp_f32_e32 v60, v60                                     // 000000007988: 7E78413C
	v_exp_f32_e32 v61, v61                                     // 00000000798C: 7E7A413D
	v_add_f32_e64 v58, v58, 1.0                                // 000000007990: D101003A 0001E53A
	v_add_f32_e64 v59, v59, 1.0                                // 000000007998: D101003B 0001E53B
	v_add_f32_e64 v60, v60, 1.0                                // 0000000079A0: D101003C 0001E53C
	v_add_f32_e64 v61, v61, 1.0                                // 0000000079A8: D101003D 0001E53D
	v_rcp_f32_e32 v58, v58                                     // 0000000079B0: 7E74453A
	v_rcp_f32_e32 v59, v59                                     // 0000000079B4: 7E76453B
	v_rcp_f32_e32 v60, v60                                     // 0000000079B8: 7E78453C
	v_rcp_f32_e32 v61, v61                                     // 0000000079BC: 7E7A453D
	v_mul_f32_e32 v88, v88, v58                                // 0000000079C0: 0AB07558
	v_mul_f32_e32 v89, v89, v59                                // 0000000079C4: 0AB27759
	v_mul_f32_e32 v90, v90, v60                                // 0000000079C8: 0AB4795A
	v_mul_f32_e32 v91, v91, v61                                // 0000000079CC: 0AB67B5B
	v_mul_f32_e32 v88, v88, v120                               // 0000000079D0: 0AB0F158
	v_mul_f32_e32 v89, v89, v121                               // 0000000079D4: 0AB2F359
	v_mul_f32_e32 v90, v90, v122                               // 0000000079D8: 0AB4F55A
	v_mul_f32_e32 v91, v91, v123                               // 0000000079DC: 0AB6F75B
	v_mul_f32_e32 v58, v92, v92                                // 0000000079E0: 0A74B95C
	v_mul_f32_e32 v59, v93, v93                                // 0000000079E4: 0A76BB5D
	v_mul_f32_e32 v60, v94, v94                                // 0000000079E8: 0A78BD5E
	v_mul_f32_e32 v61, v95, v95                                // 0000000079EC: 0A7ABF5F
	s_mov_b32 s3, 0xbd92220c                                   // 0000000079F0: BE8300FF BD92220C
	v_fma_f32 v58, v58, s3, v1                                 // 0000000079F8: D1CB003A 0404073A
	v_fma_f32 v59, v59, s3, v1                                 // 000000007A00: D1CB003B 0404073B
	v_fma_f32 v60, v60, s3, v1                                 // 000000007A08: D1CB003C 0404073C
	v_fma_f32 v61, v61, s3, v1                                 // 000000007A10: D1CB003D 0404073D
	v_mul_f32_e32 v58, v58, v92                                // 000000007A18: 0A74B93A
	v_mul_f32_e32 v59, v59, v93                                // 000000007A1C: 0A76BB3B
	v_mul_f32_e32 v60, v60, v94                                // 000000007A20: 0A78BD3C
	v_mul_f32_e32 v61, v61, v95                                // 000000007A24: 0A7ABF3D
	v_mul_f32_e64 v58, v58, s6                                 // 000000007A28: D105003A 00000D3A
	v_mul_f32_e64 v59, v59, s6                                 // 000000007A30: D105003B 00000D3B
	v_mul_f32_e64 v60, v60, s6                                 // 000000007A38: D105003C 00000D3C
	v_mul_f32_e64 v61, v61, s6                                 // 000000007A40: D105003D 00000D3D
	v_exp_f32_e32 v58, v58                                     // 000000007A48: 7E74413A
	v_exp_f32_e32 v59, v59                                     // 000000007A4C: 7E76413B
	v_exp_f32_e32 v60, v60                                     // 000000007A50: 7E78413C
	v_exp_f32_e32 v61, v61                                     // 000000007A54: 7E7A413D
	v_add_f32_e64 v58, v58, 1.0                                // 000000007A58: D101003A 0001E53A
	v_add_f32_e64 v59, v59, 1.0                                // 000000007A60: D101003B 0001E53B
	v_add_f32_e64 v60, v60, 1.0                                // 000000007A68: D101003C 0001E53C
	v_add_f32_e64 v61, v61, 1.0                                // 000000007A70: D101003D 0001E53D
	v_rcp_f32_e32 v58, v58                                     // 000000007A78: 7E74453A
	v_rcp_f32_e32 v59, v59                                     // 000000007A7C: 7E76453B
	v_rcp_f32_e32 v60, v60                                     // 000000007A80: 7E78453C
	v_rcp_f32_e32 v61, v61                                     // 000000007A84: 7E7A453D
	v_mul_f32_e32 v92, v92, v58                                // 000000007A88: 0AB8755C
	v_mul_f32_e32 v93, v93, v59                                // 000000007A8C: 0ABA775D
	v_mul_f32_e32 v94, v94, v60                                // 000000007A90: 0ABC795E
	v_mul_f32_e32 v95, v95, v61                                // 000000007A94: 0ABE7B5F
	v_mul_f32_e32 v92, v92, v124                               // 000000007A98: 0AB8F95C
	v_mul_f32_e32 v93, v93, v125                               // 000000007A9C: 0ABAFB5D
	v_mul_f32_e32 v94, v94, v126                               // 000000007AA0: 0ABCFD5E
	v_mul_f32_e32 v95, v95, v127                               // 000000007AA4: 0ABEFF5F
	buffer_load_dword v37, v8, s[16:19], 0 offen               // 000000007AA8: E0501000 80042508
	v_mov_b32_e32 v128, 0x358637bd                             // 000000007AB0: 7F0002FF 358637BD
	v_mov_b32_e32 v129, 0x358637bd                             // 000000007AB8: 7F0202FF 358637BD
	v_mov_b32_e32 v130, 0x358637bd                             // 000000007AC0: 7F0402FF 358637BD
	v_mov_b32_e32 v131, 0x358637bd                             // 000000007AC8: 7F0602FF 358637BD
	v_max3_f32 v128, |v64|, |v65|, v128                        // 000000007AD0: D1D30380 06028340
	v_max3_f32 v128, |v66|, |v67|, v128                        // 000000007AD8: D1D30380 06028742
	v_max3_f32 v129, |v68|, |v69|, v129                        // 000000007AE0: D1D30381 06068B44
	v_max3_f32 v129, |v70|, |v71|, v129                        // 000000007AE8: D1D30381 06068F46
	v_max3_f32 v130, |v72|, |v73|, v130                        // 000000007AF0: D1D30382 060A9348
	v_max3_f32 v130, |v74|, |v75|, v130                        // 000000007AF8: D1D30382 060A974A
	v_max3_f32 v131, |v76|, |v77|, v131                        // 000000007B00: D1D30383 060E9B4C
	v_max3_f32 v131, |v78|, |v79|, v131                        // 000000007B08: D1D30383 060E9F4E
	v_max3_f32 v128, |v80|, |v81|, v128                        // 000000007B10: D1D30380 0602A350
	v_max3_f32 v128, |v82|, |v83|, v128                        // 000000007B18: D1D30380 0602A752
	v_max3_f32 v129, |v84|, |v85|, v129                        // 000000007B20: D1D30381 0606AB54
	v_max3_f32 v129, |v86|, |v87|, v129                        // 000000007B28: D1D30381 0606AF56
	v_max3_f32 v130, |v88|, |v89|, v130                        // 000000007B30: D1D30382 060AB358
	v_max3_f32 v130, |v90|, |v91|, v130                        // 000000007B38: D1D30382 060AB75A
	v_max3_f32 v131, |v92|, |v93|, v131                        // 000000007B40: D1D30383 060EBB5C
	v_max3_f32 v131, |v94|, |v95|, v131                        // 000000007B48: D1D30383 060EBF5E
	v_mov_b32_e32 v58, v128                                    // 000000007B50: 7E740380
	s_nop 1                                                    // 000000007B54: BF800001
	v_permlane32_swap_b32_e32 v58, v128                        // 000000007B58: 7E74B580
	v_max_f32_e32 v128, v58, v128                              // 000000007B5C: 1701013A
	v_mov_b32_e32 v58, v128                                    // 000000007B60: 7E740380
	s_nop 1                                                    // 000000007B64: BF800001
	v_permlane16_swap_b32_e32 v58, v128                        // 000000007B68: 7E74B380
	v_max_f32_e32 v128, v58, v128                              // 000000007B6C: 1701013A
	v_mov_b32_e32 v58, v129                                    // 000000007B70: 7E740381
	s_nop 1                                                    // 000000007B74: BF800001
	v_permlane32_swap_b32_e32 v58, v129                        // 000000007B78: 7E74B581
	v_max_f32_e32 v129, v58, v129                              // 000000007B7C: 1703033A
	v_mov_b32_e32 v58, v129                                    // 000000007B80: 7E740381
	s_nop 1                                                    // 000000007B84: BF800001
	v_permlane16_swap_b32_e32 v58, v129                        // 000000007B88: 7E74B381
	v_max_f32_e32 v129, v58, v129                              // 000000007B8C: 1703033A
	v_mov_b32_e32 v58, v130                                    // 000000007B90: 7E740382
	s_nop 1                                                    // 000000007B94: BF800001
	v_permlane32_swap_b32_e32 v58, v130                        // 000000007B98: 7E74B582
	v_max_f32_e32 v130, v58, v130                              // 000000007B9C: 1705053A
	v_mov_b32_e32 v58, v130                                    // 000000007BA0: 7E740382
	s_nop 1                                                    // 000000007BA4: BF800001
	v_permlane16_swap_b32_e32 v58, v130                        // 000000007BA8: 7E74B382
	v_max_f32_e32 v130, v58, v130                              // 000000007BAC: 1705053A
	v_mov_b32_e32 v58, v131                                    // 000000007BB0: 7E740383
	s_nop 1                                                    // 000000007BB4: BF800001
	v_permlane32_swap_b32_e32 v58, v131                        // 000000007BB8: 7E74B583
	v_max_f32_e32 v131, v58, v131                              // 000000007BBC: 1707073A
	v_mov_b32_e32 v58, v131                                    // 000000007BC0: 7E740383
	s_nop 1                                                    // 000000007BC4: BF800001
	v_permlane16_swap_b32_e32 v58, v131                        // 000000007BC8: 7E74B383
	v_max_f32_e32 v131, v58, v131                              // 000000007BCC: 1707073A
	v_lshlrev_b32_e32 v58, 2, v0                               // 000000007BD0: 24740082
	s_mul_i32 s56, 64, s7                                      // 000000007BD4: 923807C0
	v_add_u32_e32 v58, s56, v58                                // 000000007BD8: 68747438
	s_mov_b32 s56, 0xffff                                      // 000000007BDC: BEB800FF 0000FFFF
	s_mov_b32 s57, 0                                           // 000000007BE4: BEB90080
	s_mov_b64 exec, s[56:57]                                   // 000000007BE8: BEFE0138
	ds_write_b32 v58, v128 offset:37888                        // 000000007BEC: D81A9400 0000803A
	ds_write_b32 v58, v129 offset:38144                        // 000000007BF4: D81A9500 0000813A
	ds_write_b32 v58, v130 offset:38400                        // 000000007BFC: D81A9600 0000823A
	ds_write_b32 v58, v131 offset:38656                        // 000000007C04: D81A9700 0000833A
	s_mov_b32 s56, -1                                          // 000000007C0C: BEB800C1
	s_mov_b32 s57, -1                                          // 000000007C10: BEB900C1
	s_mov_b64 exec, s[56:57]                                   // 000000007C14: BEFE0138
	s_waitcnt lgkmcnt(0)                                       // 000000007C18: BF8CC07F
	s_barrier                                                  // 000000007C1C: BF8A0000
	v_lshlrev_b32_e32 v58, 2, v0                               // 000000007C20: 24740082
	ds_read_b32 v252, v58 offset:37888                         // 000000007C24: D86C9400 FC00003A
	ds_read_b32 v253, v58 offset:38144                         // 000000007C2C: D86C9500 FD00003A
	ds_read_b32 v254, v58 offset:38400                         // 000000007C34: D86C9600 FE00003A
	ds_read_b32 v255, v58 offset:38656                         // 000000007C3C: D86C9700 FF00003A
	s_waitcnt lgkmcnt(0)                                       // 000000007C44: BF8CC07F
	v_mov_b32_e32 v58, v252                                    // 000000007C48: 7E7403FC
	s_nop 1                                                    // 000000007C4C: BF800001
	v_permlane32_swap_b32_e32 v58, v252                        // 000000007C50: 7E74B5FC
	v_max_f32_e32 v252, v58, v252                              // 000000007C54: 17F9F93A
	v_mov_b32_e32 v58, v252                                    // 000000007C58: 7E7403FC
	s_nop 1                                                    // 000000007C5C: BF800001
	v_permlane16_swap_b32_e32 v58, v252                        // 000000007C60: 7E74B3FC
	v_max_f32_e32 v252, v58, v252                              // 000000007C64: 17F9F93A
	v_mov_b32_e32 v58, v253                                    // 000000007C68: 7E7403FD
	s_nop 1                                                    // 000000007C6C: BF800001
	v_permlane32_swap_b32_e32 v58, v253                        // 000000007C70: 7E74B5FD
	v_max_f32_e32 v253, v58, v253                              // 000000007C74: 17FBFB3A
	v_mov_b32_e32 v58, v253                                    // 000000007C78: 7E7403FD
	s_nop 1                                                    // 000000007C7C: BF800001
	v_permlane16_swap_b32_e32 v58, v253                        // 000000007C80: 7E74B3FD
	v_max_f32_e32 v253, v58, v253                              // 000000007C84: 17FBFB3A
	v_mov_b32_e32 v58, v254                                    // 000000007C88: 7E7403FE
	s_nop 1                                                    // 000000007C8C: BF800001
	v_permlane32_swap_b32_e32 v58, v254                        // 000000007C90: 7E74B5FE
	v_max_f32_e32 v254, v58, v254                              // 000000007C94: 17FDFD3A
	v_mov_b32_e32 v58, v254                                    // 000000007C98: 7E7403FE
	s_nop 1                                                    // 000000007C9C: BF800001
	v_permlane16_swap_b32_e32 v58, v254                        // 000000007CA0: 7E74B3FE
	v_max_f32_e32 v254, v58, v254                              // 000000007CA4: 17FDFD3A
	v_mov_b32_e32 v58, v255                                    // 000000007CA8: 7E7403FF
	s_nop 1                                                    // 000000007CAC: BF800001
	v_permlane32_swap_b32_e32 v58, v255                        // 000000007CB0: 7E74B5FF
	v_max_f32_e32 v255, v58, v255                              // 000000007CB4: 17FFFF3A
	v_mov_b32_e32 v58, v255                                    // 000000007CB8: 7E7403FF
	s_nop 1                                                    // 000000007CBC: BF800001
	v_permlane16_swap_b32_e32 v58, v255                        // 000000007CC0: 7E74B3FF
	v_max_f32_e32 v255, v58, v255                              // 000000007CC4: 17FFFF3A
	v_max_f32_e32 v128, v252, v128                             // 000000007CC8: 170101FC
	v_max_f32_e32 v129, v253, v129                             // 000000007CCC: 170303FD
	v_max_f32_e32 v130, v254, v130                             // 000000007CD0: 170505FE
	v_max_f32_e32 v131, v255, v131                             // 000000007CD4: 170707FF
	v_rcp_f32_e32 v128, v128                                   // 000000007CD8: 7F004580
	v_rcp_f32_e32 v129, v129                                   // 000000007CDC: 7F024581
	v_rcp_f32_e32 v130, v130                                   // 000000007CE0: 7F044582
	v_rcp_f32_e32 v131, v131                                   // 000000007CE4: 7F064583
	v_mov_b32_e32 v58, 0x43e00000                              // 000000007CE8: 7E7402FF 43E00000
	v_mul_f32_e32 v128, v58, v128                              // 000000007CF0: 0B01013A
	v_mul_f32_e32 v129, v58, v129                              // 000000007CF4: 0B03033A
	v_mul_f32_e32 v130, v58, v130                              // 000000007CF8: 0B05053A
	v_mul_f32_e32 v131, v58, v131                              // 000000007CFC: 0B07073A
	v_mul_f32_e32 v64, v128, v64                               // 000000007D00: 0A808180
	v_mul_f32_e32 v65, v128, v65                               // 000000007D04: 0A828380
	v_mul_f32_e32 v66, v128, v66                               // 000000007D08: 0A848580
	v_mul_f32_e32 v67, v128, v67                               // 000000007D0C: 0A868780
	v_cvt_pk_fp8_f32 v64, v64, v65                             // 000000007D10: D2A20040 00028340
	v_cvt_pk_fp8_f32 v64, v66, v67 op_sel:[0,0,1]              // 000000007D18: D2A24040 00028742
	v_mul_f32_e32 v68, v129, v68                               // 000000007D20: 0A888981
	v_mul_f32_e32 v69, v129, v69                               // 000000007D24: 0A8A8B81
	v_mul_f32_e32 v70, v129, v70                               // 000000007D28: 0A8C8D81
	v_mul_f32_e32 v71, v129, v71                               // 000000007D2C: 0A8E8F81
	v_cvt_pk_fp8_f32 v65, v68, v69                             // 000000007D30: D2A20041 00028B44
	v_cvt_pk_fp8_f32 v65, v70, v71 op_sel:[0,0,1]              // 000000007D38: D2A24041 00028F46
	v_mul_f32_e32 v72, v130, v72                               // 000000007D40: 0A909182
	v_mul_f32_e32 v73, v130, v73                               // 000000007D44: 0A929382
	v_mul_f32_e32 v74, v130, v74                               // 000000007D48: 0A949582
	v_mul_f32_e32 v75, v130, v75                               // 000000007D4C: 0A969782
	v_cvt_pk_fp8_f32 v66, v72, v73                             // 000000007D50: D2A20042 00029348
	v_cvt_pk_fp8_f32 v66, v74, v75 op_sel:[0,0,1]              // 000000007D58: D2A24042 0002974A
	v_mul_f32_e32 v76, v131, v76                               // 000000007D60: 0A989983
	v_mul_f32_e32 v77, v131, v77                               // 000000007D64: 0A9A9B83
	v_mul_f32_e32 v78, v131, v78                               // 000000007D68: 0A9C9D83
	v_mul_f32_e32 v79, v131, v79                               // 000000007D6C: 0A9E9F83
	v_cvt_pk_fp8_f32 v67, v76, v77                             // 000000007D70: D2A20043 00029B4C
	v_cvt_pk_fp8_f32 v67, v78, v79 op_sel:[0,0,1]              // 000000007D78: D2A24043 00029F4E
	v_mul_f32_e32 v80, v128, v80                               // 000000007D80: 0AA0A180
	v_mul_f32_e32 v81, v128, v81                               // 000000007D84: 0AA2A380
	v_mul_f32_e32 v82, v128, v82                               // 000000007D88: 0AA4A580
	v_mul_f32_e32 v83, v128, v83                               // 000000007D8C: 0AA6A780
	v_cvt_pk_fp8_f32 v68, v80, v81                             // 000000007D90: D2A20044 0002A350
	v_cvt_pk_fp8_f32 v68, v82, v83 op_sel:[0,0,1]              // 000000007D98: D2A24044 0002A752
	v_mul_f32_e32 v84, v129, v84                               // 000000007DA0: 0AA8A981
	v_mul_f32_e32 v85, v129, v85                               // 000000007DA4: 0AAAAB81
	v_mul_f32_e32 v86, v129, v86                               // 000000007DA8: 0AACAD81
	v_mul_f32_e32 v87, v129, v87                               // 000000007DAC: 0AAEAF81
	v_cvt_pk_fp8_f32 v69, v84, v85                             // 000000007DB0: D2A20045 0002AB54
	v_cvt_pk_fp8_f32 v69, v86, v87 op_sel:[0,0,1]              // 000000007DB8: D2A24045 0002AF56
	v_mul_f32_e32 v88, v130, v88                               // 000000007DC0: 0AB0B182
	v_mul_f32_e32 v89, v130, v89                               // 000000007DC4: 0AB2B382
	v_mul_f32_e32 v90, v130, v90                               // 000000007DC8: 0AB4B582
	v_mul_f32_e32 v91, v130, v91                               // 000000007DCC: 0AB6B782
	v_cvt_pk_fp8_f32 v70, v88, v89                             // 000000007DD0: D2A20046 0002B358
	v_cvt_pk_fp8_f32 v70, v90, v91 op_sel:[0,0,1]              // 000000007DD8: D2A24046 0002B75A
	v_mul_f32_e32 v92, v131, v92                               // 000000007DE0: 0AB8B983
	v_mul_f32_e32 v93, v131, v93                               // 000000007DE4: 0ABABB83
	v_mul_f32_e32 v94, v131, v94                               // 000000007DE8: 0ABCBD83
	v_mul_f32_e32 v95, v131, v95                               // 000000007DEC: 0ABEBF83
	v_cvt_pk_fp8_f32 v71, v92, v93                             // 000000007DF0: D2A20047 0002BB5C
	v_cvt_pk_fp8_f32 v71, v94, v95 op_sel:[0,0,1]              // 000000007DF8: D2A24047 0002BF5E
	v_rcp_f32_e32 v21, v128                                    // 000000007E00: 7E2A4580
	v_rcp_f32_e32 v22, v129                                    // 000000007E04: 7E2C4581
	v_rcp_f32_e32 v23, v130                                    // 000000007E08: 7E2E4582
	v_rcp_f32_e32 v24, v131                                    // 000000007E0C: 7E304583
	v_lshrrev_b32_e32 v58, 5, v0                               // 000000007E10: 20740085
	v_lshlrev_b32_e32 v59, 6, v58                              // 000000007E14: 24767486
	v_and_b32_e32 v58, 31, v0                                  // 000000007E18: 2674009F
	v_lshrrev_b32_e32 v60, 4, v58                              // 000000007E1C: 20787484
	v_add_u32_e32 v59, v60, v59                                // 000000007E20: 6876773C
	v_and_b32_e32 v58, 15, v0                                  // 000000007E24: 2674008F
	v_lshlrev_b32_e32 v58, 1, v58                              // 000000007E28: 24747481
	v_add_u32_e32 v59, v58, v59                                // 000000007E2C: 6876773A
	v_lshlrev_b32_e32 v58, 2, v59                              // 000000007E30: 24747682
	s_mov_b32 s56, 0                                           // 000000007E34: BEB80080
	s_lshr_b32 s57, s7, 1                                      // 000000007E38: 8F398107
	s_mul_i32 s57, s57, 0x200                                  // 000000007E3C: 9239FF39 00000200
	s_add_u32 s56, s57, s56                                    // 000000007E44: 80383839
	s_and_b32 s57, s7, 1                                       // 000000007E48: 86398107
	s_mul_i32 s57, s57, 0x80                                   // 000000007E4C: 9239FF39 00000080
	s_add_u32 s56, s57, s56                                    // 000000007E54: 80383839
	v_add_u32_e64 v58, v58, s56                                // 000000007E58: D134003A 0000713A
	ds_write_b32 v58, v64 offset:41984                         // 000000007E60: D81AA400 0000403A
	ds_write_b32 v58, v65 offset:44032                         // 000000007E68: D81AAC00 0000413A
	ds_write_b32 v58, v66 offset:46080                         // 000000007E70: D81AB400 0000423A
	ds_write_b32 v58, v67 offset:48128                         // 000000007E78: D81ABC00 0000433A
	ds_write_b32 v58, v68 offset:43008                         // 000000007E80: D81AA800 0000443A
	ds_write_b32 v58, v69 offset:45056                         // 000000007E88: D81AB000 0000453A
	ds_write_b32 v58, v70 offset:47104                         // 000000007E90: D81AB800 0000463A
	ds_write_b32 v58, v71 offset:49152                         // 000000007E98: D81AC000 0000473A
	s_waitcnt lgkmcnt(0)                                       // 000000007EA0: BF8CC07F
	s_barrier                                                  // 000000007EA4: BF8A0000
	v_and_b32_e32 v58, 31, v0                                  // 000000007EA8: 2674009F
	v_lshrrev_b32_e32 v58, 4, v58                              // 000000007EAC: 20747484
	v_lshlrev_b32_e32 v59, 5, v58                              // 000000007EB0: 24767485
	v_lshrrev_b32_e32 v58, 5, v0                               // 000000007EB4: 20740085
	v_lshlrev_b32_e32 v58, 7, v58                              // 000000007EB8: 24747487
	v_add_u32_e32 v59, v58, v59                                // 000000007EBC: 6876773A
	v_and_b32_e32 v58, 15, v0                                  // 000000007EC0: 2674008F
	v_lshlrev_b32_e32 v58, 1, v58                              // 000000007EC4: 24747481
	v_add_u32_e32 v59, v58, v59                                // 000000007EC8: 6876773A
	v_lshlrev_b32_e32 v58, 2, v59                              // 000000007ECC: 24747682
	ds_read_b64 a[64:65], v58 offset:41984                     // 000000007ED0: DAECA400 4000003A
	ds_read_b64 a[66:67], v58 offset:42240                     // 000000007ED8: DAECA500 4200003A
	ds_read_b64 a[68:69], v58 offset:43008                     // 000000007EE0: DAECA800 4400003A
	ds_read_b64 a[70:71], v58 offset:43264                     // 000000007EE8: DAECA900 4600003A
	ds_read_b64 a[72:73], v58 offset:44032                     // 000000007EF0: DAECAC00 4800003A
	ds_read_b64 a[74:75], v58 offset:44288                     // 000000007EF8: DAECAD00 4A00003A
	ds_read_b64 a[76:77], v58 offset:45056                     // 000000007F00: DAECB000 4C00003A
	ds_read_b64 a[78:79], v58 offset:45312                     // 000000007F08: DAECB100 4E00003A
	ds_read_b64 a[80:81], v58 offset:46080                     // 000000007F10: DAECB400 5000003A
	ds_read_b64 a[82:83], v58 offset:46336                     // 000000007F18: DAECB500 5200003A
	ds_read_b64 a[84:85], v58 offset:47104                     // 000000007F20: DAECB800 5400003A
	ds_read_b64 a[86:87], v58 offset:47360                     // 000000007F28: DAECB900 5600003A
	ds_read_b64 a[88:89], v58 offset:48128                     // 000000007F30: DAECBC00 5800003A
	ds_read_b64 a[90:91], v58 offset:48384                     // 000000007F38: DAECBD00 5A00003A
	ds_read_b64 a[92:93], v58 offset:49152                     // 000000007F40: DAECC000 5C00003A
	ds_read_b64 a[94:95], v58 offset:49408                     // 000000007F48: DAECC100 5E00003A
	v_lshlrev_b32_e32 v58, 2, v0                               // 000000007F50: 24740082
	s_mul_i32 s56, s78, s67                                    // 000000007F54: 9238434E
	v_add_u32_e64 v96, v58, s56                                // 000000007F58: D1340060 0000713A
	v_mov_b32_e32 v97, 0                                       // 000000007F60: 7EC20280
	s_mul_i32 s56, s79, s67                                    // 000000007F64: 9238434F
	v_add_u32_e64 v98, v58, s56                                // 000000007F68: D1340062 0000713A
	v_mov_b32_e32 v99, 0                                       // 000000007F70: 7EC60280
	s_mul_i32 s56, s80, s67                                    // 000000007F74: 92384350
	v_add_u32_e64 v100, v58, s56                               // 000000007F78: D1340064 0000713A
	v_mov_b32_e32 v101, 0                                      // 000000007F80: 7ECA0280
	s_mul_i32 s56, s81, s67                                    // 000000007F84: 92384351
	v_add_u32_e64 v102, v58, s56                               // 000000007F88: D1340066 0000713A
	v_mov_b32_e32 v103, 0                                      // 000000007F90: 7ECE0280
	s_mul_i32 s56, s82, s67                                    // 000000007F94: 92384352
	v_add_u32_e64 v104, v58, s56                               // 000000007F98: D1340068 0000713A
	v_mov_b32_e32 v105, 0                                      // 000000007FA0: 7ED20280
	s_mul_i32 s56, s83, s67                                    // 000000007FA4: 92384353
	v_add_u32_e64 v106, v58, s56                               // 000000007FA8: D134006A 0000713A
	v_mov_b32_e32 v107, 0                                      // 000000007FB0: 7ED60280
	s_mul_i32 s56, s84, s67                                    // 000000007FB4: 92384354
	v_add_u32_e64 v108, v58, s56                               // 000000007FB8: D134006C 0000713A
	v_mov_b32_e32 v109, 0                                      // 000000007FC0: 7EDA0280
	s_mul_i32 s56, s85, s67                                    // 000000007FC4: 92384355
	v_add_u32_e64 v110, v58, s56                               // 000000007FC8: D134006E 0000713A
	v_mov_b32_e32 v111, 0                                      // 000000007FD0: 7EDE0280
	s_mul_i32 s56, s86, s67                                    // 000000007FD4: 92384356
	v_add_u32_e64 v112, v58, s56                               // 000000007FD8: D1340070 0000713A
	v_mov_b32_e32 v113, 0                                      // 000000007FE0: 7EE20280
	s_mul_i32 s56, s87, s67                                    // 000000007FE4: 92384357
	v_add_u32_e64 v114, v58, s56                               // 000000007FE8: D1340072 0000713A
	v_mov_b32_e32 v115, 0                                      // 000000007FF0: 7EE60280
	s_mul_i32 s56, s88, s67                                    // 000000007FF4: 92384358
	v_add_u32_e64 v116, v58, s56                               // 000000007FF8: D1340074 0000713A
	v_mov_b32_e32 v117, 0                                      // 000000008000: 7EEA0280
	s_mul_i32 s56, s89, s67                                    // 000000008004: 92384359
	v_add_u32_e64 v118, v58, s56                               // 000000008008: D1340076 0000713A
	v_mov_b32_e32 v119, 0                                      // 000000008010: 7EEE0280
	s_mul_i32 s56, s90, s67                                    // 000000008014: 9238435A
	v_add_u32_e64 v120, v58, s56                               // 000000008018: D1340078 0000713A
	v_mov_b32_e32 v121, 0                                      // 000000008020: 7EF20280
	s_mul_i32 s56, s91, s67                                    // 000000008024: 9238435B
	v_add_u32_e64 v122, v58, s56                               // 000000008028: D134007A 0000713A
	v_mov_b32_e32 v123, 0                                      // 000000008030: 7EF60280
	s_mul_i32 s56, s92, s67                                    // 000000008034: 9238435C
	v_add_u32_e64 v124, v58, s56                               // 000000008038: D134007C 0000713A
	v_mov_b32_e32 v125, 0                                      // 000000008040: 7EFA0280
	s_mul_i32 s56, s93, s67                                    // 000000008044: 9238435D
	v_add_u32_e64 v126, v58, s56                               // 000000008048: D134007E 0000713A
	v_mov_b32_e32 v127, 0                                      // 000000008050: 7EFE0280
	s_add_u32 s12, s52, s12                                    // 000000008054: 800C0C34
	s_addc_u32 s13, 0, s13                                     // 000000008058: 820D0D80
	s_add_u32 s16, s75, s16                                    // 00000000805C: 8010104B
	s_addc_u32 s17, 0, s17                                     // 000000008060: 82111180
	s_mov_b32 s76, 0                                           // 000000008064: BECC0080
	s_waitcnt vmcnt(0) expcnt(0) lgkmcnt(0)                    // 000000008068: BF8C0000

000000000000806c <label_149B>:
	s_waitcnt vmcnt(4)                                         // 00000000806C: BF8C0F74
	s_barrier                                                  // 000000008070: BF8A0000
	v_mfma_f32_16x16x128_f8f6f4 v[128:131], a[0:7], a[64:71], 0// 000000008074: D3AD0080 1A028100
	buffer_load_dwordx4 a[32:35], v49, s[12:15], 0 offen       // 00000000807C: E05C1000 80832031
	buffer_load_dwordx4 a[36:39], v49, s[12:15], 0 offen offset:1024// 000000008084: E05C1400 80832431
	v_mfma_f32_16x16x128_f8f6f4 v[132:135], a[0:7], a[72:79], 0// 00000000808C: D3AD0084 1A029100
	v_mfma_f32_16x16x128_f8f6f4 v[136:139], a[0:7], a[80:87], 0// 000000008094: D3AD0088 1A02A100
	buffer_load_dwordx4 a[40:43], v50, s[12:15], 0 offen       // 00000000809C: E05C1000 80832832
	buffer_load_dwordx4 a[44:47], v50, s[12:15], 0 offen offset:1024// 0000000080A4: E05C1400 80832C32
	buffer_load_dword v38, v8, s[16:19], 0 offen               // 0000000080AC: E0501000 80042608
	v_mfma_f32_16x16x128_f8f6f4 v[140:143], a[0:7], a[88:95], 0// 0000000080B4: D3AD008C 1A02B100
	s_waitcnt vmcnt(5)                                         // 0000000080BC: BF8C0F75
	v_mfma_f32_16x16x128_f8f6f4 v[144:147], a[8:15], a[64:71], 0// 0000000080C0: D3AD0090 1A028108
	buffer_load_dwordx4 a[48:51], v51, s[12:15], 0 offen       // 0000000080C8: E05C1000 80833033
	buffer_load_dwordx4 a[52:55], v51, s[12:15], 0 offen offset:1024// 0000000080D0: E05C1400 80833433
	v_mfma_f32_16x16x128_f8f6f4 v[148:151], a[8:15], a[72:79], 0// 0000000080D8: D3AD0094 1A029108
	v_mfma_f32_16x16x128_f8f6f4 v[152:155], a[8:15], a[80:87], 0// 0000000080E0: D3AD0098 1A02A108
	buffer_load_dwordx4 a[56:59], v52, s[12:15], 0 offen       // 0000000080E8: E05C1000 80833834
	buffer_load_dwordx4 a[60:63], v52, s[12:15], 0 offen offset:1024// 0000000080F0: E05C1400 80833C34
	v_mfma_f32_16x16x128_f8f6f4 v[156:159], a[8:15], a[88:95], 0// 0000000080F8: D3AD009C 1A02B108
	s_waitcnt vmcnt(5)                                         // 000000008100: BF8C0F75
	v_mfma_f32_16x16x128_f8f6f4 v[160:163], a[16:23], a[64:71], 0// 000000008104: D3AD00A0 1A028110
	v_mfma_f32_16x16x128_f8f6f4 v[164:167], a[16:23], a[72:79], 0// 00000000810C: D3AD00A4 1A029110
	v_mfma_f32_16x16x128_f8f6f4 v[168:171], a[16:23], a[80:87], 0// 000000008114: D3AD00A8 1A02A110
	v_mfma_f32_16x16x128_f8f6f4 v[172:175], a[16:23], a[88:95], 0// 00000000811C: D3AD00AC 1A02B110
	s_waitcnt vmcnt(5)                                         // 000000008124: BF8C0F75
	v_mfma_f32_16x16x128_f8f6f4 v[176:179], a[24:31], a[64:71], 0// 000000008128: D3AD00B0 1A028118
	v_mfma_f32_16x16x128_f8f6f4 v[180:183], a[24:31], a[72:79], 0// 000000008130: D3AD00B4 1A029118
	v_mfma_f32_16x16x128_f8f6f4 v[184:187], a[24:31], a[80:87], 0// 000000008138: D3AD00B8 1A02A118
	v_mfma_f32_16x16x128_f8f6f4 v[188:191], a[24:31], a[88:95], 0// 000000008140: D3AD00BC 1A02B118
	v_mul_f32_dpp v58, v37, v21 row_newbcast:0 row_mask:0xf bank_mask:0xf// 000000008148: 0A742AFA FF015025
	v_mov_b32_e32 v59, v58                                     // 000000008150: 7E76033A
	v_pk_mul_f32 v[128:129], v[58:59], v[128:129]              // 000000008154: D3B14080 1803013A
	v_pk_mul_f32 v[130:131], v[58:59], v[130:131]              // 00000000815C: D3B14082 1803053A
	v_pk_mul_f32 v[144:145], v[58:59], v[144:145]              // 000000008164: D3B14090 1803213A
	v_pk_mul_f32 v[146:147], v[58:59], v[146:147]              // 00000000816C: D3B14092 1803253A
	v_mul_f32_dpp v58, v37, v21 row_newbcast:1 row_mask:0xf bank_mask:0xf// 000000008174: 0A742AFA FF015125
	v_mov_b32_e32 v59, v58                                     // 00000000817C: 7E76033A
	v_pk_mul_f32 v[160:161], v[58:59], v[160:161]              // 000000008180: D3B140A0 1803413A
	v_pk_mul_f32 v[162:163], v[58:59], v[162:163]              // 000000008188: D3B140A2 1803453A
	v_pk_mul_f32 v[176:177], v[58:59], v[176:177]              // 000000008190: D3B140B0 1803613A
	v_pk_mul_f32 v[178:179], v[58:59], v[178:179]              // 000000008198: D3B140B2 1803653A
	v_mul_f32_dpp v58, v37, v22 row_newbcast:0 row_mask:0xf bank_mask:0xf// 0000000081A0: 0A742CFA FF015025
	v_mov_b32_e32 v59, v58                                     // 0000000081A8: 7E76033A
	v_pk_mul_f32 v[132:133], v[58:59], v[132:133]              // 0000000081AC: D3B14084 1803093A
	v_pk_mul_f32 v[134:135], v[58:59], v[134:135]              // 0000000081B4: D3B14086 18030D3A
	v_pk_mul_f32 v[148:149], v[58:59], v[148:149]              // 0000000081BC: D3B14094 1803293A
	v_pk_mul_f32 v[150:151], v[58:59], v[150:151]              // 0000000081C4: D3B14096 18032D3A
	v_mul_f32_dpp v58, v37, v22 row_newbcast:1 row_mask:0xf bank_mask:0xf// 0000000081CC: 0A742CFA FF015125
	v_mov_b32_e32 v59, v58                                     // 0000000081D4: 7E76033A
	v_pk_mul_f32 v[164:165], v[58:59], v[164:165]              // 0000000081D8: D3B140A4 1803493A
	v_pk_mul_f32 v[166:167], v[58:59], v[166:167]              // 0000000081E0: D3B140A6 18034D3A
	v_pk_mul_f32 v[180:181], v[58:59], v[180:181]              // 0000000081E8: D3B140B4 1803693A
	v_pk_mul_f32 v[182:183], v[58:59], v[182:183]              // 0000000081F0: D3B140B6 18036D3A
	v_mul_f32_dpp v58, v37, v23 row_newbcast:0 row_mask:0xf bank_mask:0xf// 0000000081F8: 0A742EFA FF015025
	v_mov_b32_e32 v59, v58                                     // 000000008200: 7E76033A
	v_pk_mul_f32 v[136:137], v[58:59], v[136:137]              // 000000008204: D3B14088 1803113A
	v_pk_mul_f32 v[138:139], v[58:59], v[138:139]              // 00000000820C: D3B1408A 1803153A
	v_pk_mul_f32 v[152:153], v[58:59], v[152:153]              // 000000008214: D3B14098 1803313A
	v_pk_mul_f32 v[154:155], v[58:59], v[154:155]              // 00000000821C: D3B1409A 1803353A
	v_mul_f32_dpp v58, v37, v23 row_newbcast:1 row_mask:0xf bank_mask:0xf// 000000008224: 0A742EFA FF015125
	v_mov_b32_e32 v59, v58                                     // 00000000822C: 7E76033A
	v_pk_mul_f32 v[168:169], v[58:59], v[168:169]              // 000000008230: D3B140A8 1803513A
	v_pk_mul_f32 v[170:171], v[58:59], v[170:171]              // 000000008238: D3B140AA 1803553A
	v_pk_mul_f32 v[184:185], v[58:59], v[184:185]              // 000000008240: D3B140B8 1803713A
	v_pk_mul_f32 v[186:187], v[58:59], v[186:187]              // 000000008248: D3B140BA 1803753A
	v_mul_f32_dpp v58, v37, v24 row_newbcast:0 row_mask:0xf bank_mask:0xf// 000000008250: 0A7430FA FF015025
	v_mov_b32_e32 v59, v58                                     // 000000008258: 7E76033A
	v_pk_mul_f32 v[140:141], v[58:59], v[140:141]              // 00000000825C: D3B1408C 1803193A
	v_pk_mul_f32 v[142:143], v[58:59], v[142:143]              // 000000008264: D3B1408E 18031D3A
	v_pk_mul_f32 v[156:157], v[58:59], v[156:157]              // 00000000826C: D3B1409C 1803393A
	v_pk_mul_f32 v[158:159], v[58:59], v[158:159]              // 000000008274: D3B1409E 18033D3A
	v_mul_f32_dpp v58, v37, v24 row_newbcast:1 row_mask:0xf bank_mask:0xf// 00000000827C: 0A7430FA FF015125
	v_mov_b32_e32 v59, v58                                     // 000000008284: 7E76033A
	v_pk_mul_f32 v[172:173], v[58:59], v[172:173]              // 000000008288: D3B140AC 1803593A
	v_pk_mul_f32 v[174:175], v[58:59], v[174:175]              // 000000008290: D3B140AE 18035D3A
	v_pk_mul_f32 v[188:189], v[58:59], v[188:189]              // 000000008298: D3B140BC 1803793A
	v_pk_mul_f32 v[190:191], v[58:59], v[190:191]              // 0000000082A0: D3B140BE 18037D3A
	s_add_u32 s56, 0x200, s76                                  // 0000000082A8: 80384CFF 00000200
	s_cmp_lt_u32 s56, s77                                      // 0000000082B0: BF0A4D38
	s_cselect_b32 s52, s52, 0                                  // 0000000082B4: 85348034
	s_cselect_b32 s74, s74, 0                                  // 0000000082B8: 854A804A
	s_cselect_b32 s75, s75, 0                                  // 0000000082BC: 854B804B
	s_add_u32 s12, s52, s12                                    // 0000000082C0: 800C0C34
	s_addc_u32 s13, 0, s13                                     // 0000000082C4: 820D0D80
	s_add_u32 s16, s75, s16                                    // 0000000082C8: 8010104B
	s_addc_u32 s17, 0, s17                                     // 0000000082CC: 82111180
	v_mov_b32_e32 v58, v39                                     // 0000000082D0: 7E740327
	v_mov_b32_e32 v59, v39                                     // 0000000082D4: 7E760327
	v_pk_mul_f32 v[128:129], v[58:59], v[128:129]              // 0000000082D8: D3B14080 1803013A
	v_pk_mul_f32 v[130:131], v[58:59], v[130:131]              // 0000000082E0: D3B14082 1803053A
	v_pk_mul_f32 v[144:145], v[58:59], v[144:145]              // 0000000082E8: D3B14090 1803213A
	v_pk_mul_f32 v[146:147], v[58:59], v[146:147]              // 0000000082F0: D3B14092 1803253A
	v_pk_mul_f32 v[160:161], v[58:59], v[160:161]              // 0000000082F8: D3B140A0 1803413A
	v_pk_mul_f32 v[162:163], v[58:59], v[162:163]              // 000000008300: D3B140A2 1803453A
	v_pk_mul_f32 v[176:177], v[58:59], v[176:177]              // 000000008308: D3B140B0 1803613A
	v_pk_mul_f32 v[178:179], v[58:59], v[178:179]              // 000000008310: D3B140B2 1803653A
	v_mov_b32_e32 v58, v40                                     // 000000008318: 7E740328
	v_mov_b32_e32 v59, v40                                     // 00000000831C: 7E760328
	v_pk_mul_f32 v[132:133], v[58:59], v[132:133]              // 000000008320: D3B14084 1803093A
	v_pk_mul_f32 v[134:135], v[58:59], v[134:135]              // 000000008328: D3B14086 18030D3A
	v_pk_mul_f32 v[148:149], v[58:59], v[148:149]              // 000000008330: D3B14094 1803293A
	v_pk_mul_f32 v[150:151], v[58:59], v[150:151]              // 000000008338: D3B14096 18032D3A
	v_pk_mul_f32 v[164:165], v[58:59], v[164:165]              // 000000008340: D3B140A4 1803493A
	v_pk_mul_f32 v[166:167], v[58:59], v[166:167]              // 000000008348: D3B140A6 18034D3A
	v_pk_mul_f32 v[180:181], v[58:59], v[180:181]              // 000000008350: D3B140B4 1803693A
	v_pk_mul_f32 v[182:183], v[58:59], v[182:183]              // 000000008358: D3B140B6 18036D3A
	v_mov_b32_e32 v58, v41                                     // 000000008360: 7E740329
	v_mov_b32_e32 v59, v41                                     // 000000008364: 7E760329
	v_pk_mul_f32 v[136:137], v[58:59], v[136:137]              // 000000008368: D3B14088 1803113A
	v_pk_mul_f32 v[138:139], v[58:59], v[138:139]              // 000000008370: D3B1408A 1803153A
	v_pk_mul_f32 v[152:153], v[58:59], v[152:153]              // 000000008378: D3B14098 1803313A
	v_pk_mul_f32 v[154:155], v[58:59], v[154:155]              // 000000008380: D3B1409A 1803353A
	v_pk_mul_f32 v[168:169], v[58:59], v[168:169]              // 000000008388: D3B140A8 1803513A
	v_pk_mul_f32 v[170:171], v[58:59], v[170:171]              // 000000008390: D3B140AA 1803553A
	v_pk_mul_f32 v[184:185], v[58:59], v[184:185]              // 000000008398: D3B140B8 1803713A
	v_pk_mul_f32 v[186:187], v[58:59], v[186:187]              // 0000000083A0: D3B140BA 1803753A
	v_mov_b32_e32 v58, v42                                     // 0000000083A8: 7E74032A
	v_mov_b32_e32 v59, v42                                     // 0000000083AC: 7E76032A
	v_pk_mul_f32 v[140:141], v[58:59], v[140:141]              // 0000000083B0: D3B1408C 1803193A
	v_pk_mul_f32 v[142:143], v[58:59], v[142:143]              // 0000000083B8: D3B1408E 18031D3A
	v_pk_mul_f32 v[156:157], v[58:59], v[156:157]              // 0000000083C0: D3B1409C 1803393A
	v_pk_mul_f32 v[158:159], v[58:59], v[158:159]              // 0000000083C8: D3B1409E 18033D3A
	v_pk_mul_f32 v[172:173], v[58:59], v[172:173]              // 0000000083D0: D3B140AC 1803593A
	v_pk_mul_f32 v[174:175], v[58:59], v[174:175]              // 0000000083D8: D3B140AE 18035D3A
	v_pk_mul_f32 v[188:189], v[58:59], v[188:189]              // 0000000083E0: D3B140BC 1803793A
	v_pk_mul_f32 v[190:191], v[58:59], v[190:191]              // 0000000083E8: D3B140BE 18037D3A
	v_cvt_pk_bf16_f32 v128, v128, v129                         // 0000000083F0: D2680080 00030380
	v_cvt_pk_bf16_f32 v129, v130, v131                         // 0000000083F8: D2680081 00030782
	v_cvt_pk_bf16_f32 v130, v132, v133                         // 000000008400: D2680082 00030B84
	v_cvt_pk_bf16_f32 v131, v134, v135                         // 000000008408: D2680083 00030F86
	v_cvt_pk_bf16_f32 v132, v136, v137                         // 000000008410: D2680084 00031388
	v_cvt_pk_bf16_f32 v133, v138, v139                         // 000000008418: D2680085 0003178A
	v_cvt_pk_bf16_f32 v134, v140, v141                         // 000000008420: D2680086 00031B8C
	v_cvt_pk_bf16_f32 v135, v142, v143                         // 000000008428: D2680087 00031F8E
	v_cvt_pk_bf16_f32 v136, v144, v145                         // 000000008430: D2680088 00032390
	v_cvt_pk_bf16_f32 v137, v146, v147                         // 000000008438: D2680089 00032792
	v_cvt_pk_bf16_f32 v138, v148, v149                         // 000000008440: D268008A 00032B94
	v_cvt_pk_bf16_f32 v139, v150, v151                         // 000000008448: D268008B 00032F96
	v_cvt_pk_bf16_f32 v140, v152, v153                         // 000000008450: D268008C 00033398
	v_cvt_pk_bf16_f32 v141, v154, v155                         // 000000008458: D268008D 0003379A
	v_cvt_pk_bf16_f32 v142, v156, v157                         // 000000008460: D268008E 00033B9C
	v_cvt_pk_bf16_f32 v143, v158, v159                         // 000000008468: D268008F 00033F9E
	v_cvt_pk_bf16_f32 v144, v160, v161                         // 000000008470: D2680090 000343A0
	v_cvt_pk_bf16_f32 v145, v162, v163                         // 000000008478: D2680091 000347A2
	v_cvt_pk_bf16_f32 v146, v164, v165                         // 000000008480: D2680092 00034BA4
	v_cvt_pk_bf16_f32 v147, v166, v167                         // 000000008488: D2680093 00034FA6
	v_cvt_pk_bf16_f32 v148, v168, v169                         // 000000008490: D2680094 000353A8
	v_cvt_pk_bf16_f32 v149, v170, v171                         // 000000008498: D2680095 000357AA
	v_cvt_pk_bf16_f32 v150, v172, v173                         // 0000000084A0: D2680096 00035BAC
	v_cvt_pk_bf16_f32 v151, v174, v175                         // 0000000084A8: D2680097 00035FAE
	v_cvt_pk_bf16_f32 v152, v176, v177                         // 0000000084B0: D2680098 000363B0
	v_cvt_pk_bf16_f32 v153, v178, v179                         // 0000000084B8: D2680099 000367B2
	v_cvt_pk_bf16_f32 v154, v180, v181                         // 0000000084C0: D268009A 00036BB4
	v_cvt_pk_bf16_f32 v155, v182, v183                         // 0000000084C8: D268009B 00036FB6
	v_cvt_pk_bf16_f32 v156, v184, v185                         // 0000000084D0: D268009C 000373B8
	v_cvt_pk_bf16_f32 v157, v186, v187                         // 0000000084D8: D268009D 000377BA
	v_cvt_pk_bf16_f32 v158, v188, v189                         // 0000000084E0: D268009E 00037BBC
	v_cvt_pk_bf16_f32 v159, v190, v191                         // 0000000084E8: D268009F 00037FBE
	ds_write_b64 v4, v[128:129]                                // 0000000084F0: D89A0000 00008004
	ds_write_b64 v4, v[130:131] offset:8704                    // 0000000084F8: D89A2200 00008204
	ds_write_b64 v5, v[132:133]                                // 000000008500: D89A0000 00008405
	ds_write_b64 v5, v[134:135] offset:8704                    // 000000008508: D89A2200 00008605
	ds_write_b64 v4, v[136:137] offset:2176                    // 000000008510: D89A0880 00008804
	ds_write_b64 v4, v[138:139] offset:10880                   // 000000008518: D89A2A80 00008A04
	ds_write_b64 v5, v[140:141] offset:2176                    // 000000008520: D89A0880 00008C05
	ds_write_b64 v5, v[142:143] offset:10880                   // 000000008528: D89A2A80 00008E05
	ds_write_b64 v4, v[144:145] offset:4352                    // 000000008530: D89A1100 00009004
	ds_write_b64 v4, v[146:147] offset:13056                   // 000000008538: D89A3300 00009204
	ds_write_b64 v5, v[148:149] offset:4352                    // 000000008540: D89A1100 00009405
	ds_write_b64 v5, v[150:151] offset:13056                   // 000000008548: D89A3300 00009605
	ds_write_b64 v4, v[152:153] offset:6528                    // 000000008550: D89A1980 00009804
	ds_write_b64 v4, v[154:155] offset:15232                   // 000000008558: D89A3B80 00009A04
	ds_write_b64 v5, v[156:157] offset:6528                    // 000000008560: D89A1980 00009C05
	ds_write_b64 v5, v[158:159] offset:15232                   // 000000008568: D89A3B80 00009E05
	s_waitcnt lgkmcnt(0)                                       // 000000008570: BF8CC07F
	s_barrier                                                  // 000000008574: BF8A0000
	ds_read_b32 v64, v6                                        // 000000008578: D86C0000 40000006
	ds_read_b32 v65, v6 offset:4352                            // 000000008580: D86C1100 41000006
	ds_read_b32 v66, v6 offset:8                               // 000000008588: D86C0008 42000006
	ds_read_b32 v67, v6 offset:4360                            // 000000008590: D86C1108 43000006
	ds_read_b32 v68, v6 offset:32                              // 000000008598: D86C0020 44000006
	ds_read_b32 v69, v6 offset:4384                            // 0000000085A0: D86C1120 45000006
	ds_read_b32 v70, v6 offset:40                              // 0000000085A8: D86C0028 46000006
	ds_read_b32 v71, v6 offset:4392                            // 0000000085B0: D86C1128 47000006
	ds_read_b32 v72, v6 offset:8704                            // 0000000085B8: D86C2200 48000006
	ds_read_b32 v73, v6 offset:13056                           // 0000000085C0: D86C3300 49000006
	ds_read_b32 v74, v6 offset:8712                            // 0000000085C8: D86C2208 4A000006
	ds_read_b32 v75, v6 offset:13064                           // 0000000085D0: D86C3308 4B000006
	ds_read_b32 v76, v6 offset:8736                            // 0000000085D8: D86C2220 4C000006
	ds_read_b32 v77, v6 offset:13088                           // 0000000085E0: D86C3320 4D000006
	ds_read_b32 v78, v6 offset:8744                            // 0000000085E8: D86C2228 4E000006
	ds_read_b32 v79, v6 offset:13096                           // 0000000085F0: D86C3328 4F000006
	ds_read_b32 v80, v7                                        // 0000000085F8: D86C0000 50000007
	ds_read_b32 v81, v7 offset:4352                            // 000000008600: D86C1100 51000007
	ds_read_b32 v82, v7 offset:8                               // 000000008608: D86C0008 52000007
	ds_read_b32 v83, v7 offset:4360                            // 000000008610: D86C1108 53000007
	ds_read_b32 v84, v7 offset:32                              // 000000008618: D86C0020 54000007
	ds_read_b32 v85, v7 offset:4384                            // 000000008620: D86C1120 55000007
	ds_read_b32 v86, v7 offset:40                              // 000000008628: D86C0028 56000007
	ds_read_b32 v87, v7 offset:4392                            // 000000008630: D86C1128 57000007
	ds_read_b32 v88, v7 offset:8704                            // 000000008638: D86C2200 58000007
	ds_read_b32 v89, v7 offset:13056                           // 000000008640: D86C3300 59000007
	ds_read_b32 v90, v7 offset:8712                            // 000000008648: D86C2208 5A000007
	ds_read_b32 v91, v7 offset:13064                           // 000000008650: D86C3308 5B000007
	ds_read_b32 v92, v7 offset:8736                            // 000000008658: D86C2220 5C000007
	ds_read_b32 v93, v7 offset:13088                           // 000000008660: D86C3320 5D000007
	ds_read_b32 v94, v7 offset:8744                            // 000000008668: D86C2228 5E000007
	ds_read_b32 v95, v7 offset:13096                           // 000000008670: D86C3328 5F000007
	s_waitcnt lgkmcnt(0)                                       // 000000008678: BF8CC07F
	s_setvskip s20, 0                                          // 00000000867C: BF108014
	global_atomic_pk_add_bf16 v96, v64, s[8:9]                 // 000000008680: DD488000 00084060
	s_setvskip 0, 0                                            // 000000008688: BF108080
	s_setvskip s20, 0                                          // 00000000868C: BF108014
	global_atomic_pk_add_bf16 v96, v65, s[8:9] offset:256      // 000000008690: DD488100 00084160
	s_setvskip 0, 0                                            // 000000008698: BF108080
	s_setvskip s20, 1                                          // 00000000869C: BF108114
	global_atomic_pk_add_bf16 v98, v66, s[8:9]                 // 0000000086A0: DD488000 00084262
	s_setvskip 0, 0                                            // 0000000086A8: BF108080
	s_setvskip s20, 1                                          // 0000000086AC: BF108114
	global_atomic_pk_add_bf16 v98, v67, s[8:9] offset:256      // 0000000086B0: DD488100 00084362
	s_setvskip 0, 0                                            // 0000000086B8: BF108080
	s_setvskip s20, 2                                          // 0000000086BC: BF108214
	global_atomic_pk_add_bf16 v100, v68, s[8:9]                // 0000000086C0: DD488000 00084464
	s_setvskip 0, 0                                            // 0000000086C8: BF108080
	s_setvskip s20, 2                                          // 0000000086CC: BF108214
	global_atomic_pk_add_bf16 v100, v69, s[8:9] offset:256     // 0000000086D0: DD488100 00084564
	s_setvskip 0, 0                                            // 0000000086D8: BF108080
	s_setvskip s20, 3                                          // 0000000086DC: BF108314
	global_atomic_pk_add_bf16 v102, v70, s[8:9]                // 0000000086E0: DD488000 00084666
	s_setvskip 0, 0                                            // 0000000086E8: BF108080
	s_setvskip s20, 3                                          // 0000000086EC: BF108314
	global_atomic_pk_add_bf16 v102, v71, s[8:9] offset:256     // 0000000086F0: DD488100 00084766
	s_setvskip 0, 0                                            // 0000000086F8: BF108080
	s_setvskip s20, 4                                          // 0000000086FC: BF108414
	global_atomic_pk_add_bf16 v104, v72, s[8:9]                // 000000008700: DD488000 00084868
	s_setvskip 0, 0                                            // 000000008708: BF108080
	s_setvskip s20, 4                                          // 00000000870C: BF108414
	global_atomic_pk_add_bf16 v104, v73, s[8:9] offset:256     // 000000008710: DD488100 00084968
	s_setvskip 0, 0                                            // 000000008718: BF108080
	s_setvskip s20, 5                                          // 00000000871C: BF108514
	global_atomic_pk_add_bf16 v106, v74, s[8:9]                // 000000008720: DD488000 00084A6A
	s_setvskip 0, 0                                            // 000000008728: BF108080
	s_setvskip s20, 5                                          // 00000000872C: BF108514
	global_atomic_pk_add_bf16 v106, v75, s[8:9] offset:256     // 000000008730: DD488100 00084B6A
	s_setvskip 0, 0                                            // 000000008738: BF108080
	s_setvskip s20, 6                                          // 00000000873C: BF108614
	global_atomic_pk_add_bf16 v108, v76, s[8:9]                // 000000008740: DD488000 00084C6C
	s_setvskip 0, 0                                            // 000000008748: BF108080
	s_setvskip s20, 6                                          // 00000000874C: BF108614
	global_atomic_pk_add_bf16 v108, v77, s[8:9] offset:256     // 000000008750: DD488100 00084D6C
	s_setvskip 0, 0                                            // 000000008758: BF108080
	s_setvskip s20, 7                                          // 00000000875C: BF108714
	global_atomic_pk_add_bf16 v110, v78, s[8:9]                // 000000008760: DD488000 00084E6E
	s_setvskip 0, 0                                            // 000000008768: BF108080
	s_setvskip s20, 7                                          // 00000000876C: BF108714
	global_atomic_pk_add_bf16 v110, v79, s[8:9] offset:256     // 000000008770: DD488100 00084F6E
	s_setvskip 0, 0                                            // 000000008778: BF108080
	s_setvskip s20, 8                                          // 00000000877C: BF108814
	global_atomic_pk_add_bf16 v112, v80, s[8:9]                // 000000008780: DD488000 00085070
	s_setvskip 0, 0                                            // 000000008788: BF108080
	s_setvskip s20, 8                                          // 00000000878C: BF108814
	global_atomic_pk_add_bf16 v112, v81, s[8:9] offset:256     // 000000008790: DD488100 00085170
	s_setvskip 0, 0                                            // 000000008798: BF108080
	s_setvskip s20, 9                                          // 00000000879C: BF108914
	global_atomic_pk_add_bf16 v114, v82, s[8:9]                // 0000000087A0: DD488000 00085272
	s_setvskip 0, 0                                            // 0000000087A8: BF108080
	s_setvskip s20, 9                                          // 0000000087AC: BF108914
	global_atomic_pk_add_bf16 v114, v83, s[8:9] offset:256     // 0000000087B0: DD488100 00085372
	s_setvskip 0, 0                                            // 0000000087B8: BF108080
	s_setvskip s20, 10                                         // 0000000087BC: BF108A14
	global_atomic_pk_add_bf16 v116, v84, s[8:9]                // 0000000087C0: DD488000 00085474
	s_setvskip 0, 0                                            // 0000000087C8: BF108080
	s_setvskip s20, 10                                         // 0000000087CC: BF108A14
	global_atomic_pk_add_bf16 v116, v85, s[8:9] offset:256     // 0000000087D0: DD488100 00085574
	s_setvskip 0, 0                                            // 0000000087D8: BF108080
	s_setvskip s20, 11                                         // 0000000087DC: BF108B14
	global_atomic_pk_add_bf16 v118, v86, s[8:9]                // 0000000087E0: DD488000 00085676
	s_setvskip 0, 0                                            // 0000000087E8: BF108080
	s_setvskip s20, 11                                         // 0000000087EC: BF108B14
	global_atomic_pk_add_bf16 v118, v87, s[8:9] offset:256     // 0000000087F0: DD488100 00085776
	s_setvskip 0, 0                                            // 0000000087F8: BF108080
	s_setvskip s20, 12                                         // 0000000087FC: BF108C14
	global_atomic_pk_add_bf16 v120, v88, s[8:9]                // 000000008800: DD488000 00085878
	s_setvskip 0, 0                                            // 000000008808: BF108080
	s_setvskip s20, 12                                         // 00000000880C: BF108C14
	global_atomic_pk_add_bf16 v120, v89, s[8:9] offset:256     // 000000008810: DD488100 00085978
	s_setvskip 0, 0                                            // 000000008818: BF108080
	s_setvskip s20, 13                                         // 00000000881C: BF108D14
	global_atomic_pk_add_bf16 v122, v90, s[8:9]                // 000000008820: DD488000 00085A7A
	s_setvskip 0, 0                                            // 000000008828: BF108080
	s_setvskip s20, 13                                         // 00000000882C: BF108D14
	global_atomic_pk_add_bf16 v122, v91, s[8:9] offset:256     // 000000008830: DD488100 00085B7A
	s_setvskip 0, 0                                            // 000000008838: BF108080
	s_setvskip s20, 14                                         // 00000000883C: BF108E14
	global_atomic_pk_add_bf16 v124, v92, s[8:9]                // 000000008840: DD488000 00085C7C
	s_setvskip 0, 0                                            // 000000008848: BF108080
	s_setvskip s20, 14                                         // 00000000884C: BF108E14
	global_atomic_pk_add_bf16 v124, v93, s[8:9] offset:256     // 000000008850: DD488100 00085D7C
	s_setvskip 0, 0                                            // 000000008858: BF108080
	s_setvskip s20, 15                                         // 00000000885C: BF108F14
	global_atomic_pk_add_bf16 v126, v94, s[8:9]                // 000000008860: DD488000 00085E7E
	s_setvskip 0, 0                                            // 000000008868: BF108080
	s_setvskip s20, 15                                         // 00000000886C: BF108F14
	global_atomic_pk_add_bf16 v126, v95, s[8:9] offset:256     // 000000008870: DD488100 00085F7E
	s_setvskip 0, 0                                            // 000000008878: BF108080
	s_add_u32 s8, s55, s8                                      // 00000000887C: 80080837
	s_addc_u32 s9, 0, s9                                       // 000000008880: 82090980
	s_addk_i32 s76, 0x100                                      // 000000008884: B74C0100
	s_cmp_lt_i32 s76, s77                                      // 000000008888: BF044D4C
	s_cbranch_scc0 label_0E53                                  // 00000000888C: BF84F7AF
	s_waitcnt vmcnt(4)                                         // 000000008890: BF8C0F74
	s_barrier                                                  // 000000008894: BF8A0000
	v_mfma_f32_16x16x128_f8f6f4 v[192:195], a[32:39], a[64:71], 0// 000000008898: D3AD00C0 1A028120
	buffer_load_dwordx4 a[0:3], v49, s[12:15], 0 offen         // 0000000088A0: E05C1000 80830031
	buffer_load_dwordx4 a[4:7], v49, s[12:15], 0 offen offset:1024// 0000000088A8: E05C1400 80830431
	v_mfma_f32_16x16x128_f8f6f4 v[196:199], a[32:39], a[72:79], 0// 0000000088B0: D3AD00C4 1A029120
	v_mfma_f32_16x16x128_f8f6f4 v[200:203], a[32:39], a[80:87], 0// 0000000088B8: D3AD00C8 1A02A120
	buffer_load_dwordx4 a[8:11], v50, s[12:15], 0 offen        // 0000000088C0: E05C1000 80830832
	buffer_load_dwordx4 a[12:15], v50, s[12:15], 0 offen offset:1024// 0000000088C8: E05C1400 80830C32
	buffer_load_dword v37, v8, s[16:19], 0 offen               // 0000000088D0: E0501000 80042508
	v_mfma_f32_16x16x128_f8f6f4 v[204:207], a[32:39], a[88:95], 0// 0000000088D8: D3AD00CC 1A02B120
	s_waitcnt vmcnt(5)                                         // 0000000088E0: BF8C0F75
	v_mfma_f32_16x16x128_f8f6f4 v[208:211], a[40:47], a[64:71], 0// 0000000088E4: D3AD00D0 1A028128
	buffer_load_dwordx4 a[16:19], v51, s[12:15], 0 offen       // 0000000088EC: E05C1000 80831033
	buffer_load_dwordx4 a[20:23], v51, s[12:15], 0 offen offset:1024// 0000000088F4: E05C1400 80831433
	v_mfma_f32_16x16x128_f8f6f4 v[212:215], a[40:47], a[72:79], 0// 0000000088FC: D3AD00D4 1A029128
	v_mfma_f32_16x16x128_f8f6f4 v[216:219], a[40:47], a[80:87], 0// 000000008904: D3AD00D8 1A02A128
	buffer_load_dwordx4 a[24:27], v52, s[12:15], 0 offen       // 00000000890C: E05C1000 80831834
	buffer_load_dwordx4 a[28:31], v52, s[12:15], 0 offen offset:1024// 000000008914: E05C1400 80831C34
	v_mfma_f32_16x16x128_f8f6f4 v[220:223], a[40:47], a[88:95], 0// 00000000891C: D3AD00DC 1A02B128
	s_waitcnt vmcnt(5)                                         // 000000008924: BF8C0F75
	v_mfma_f32_16x16x128_f8f6f4 v[224:227], a[48:55], a[64:71], 0// 000000008928: D3AD00E0 1A028130
	v_mfma_f32_16x16x128_f8f6f4 v[228:231], a[48:55], a[72:79], 0// 000000008930: D3AD00E4 1A029130
	v_mfma_f32_16x16x128_f8f6f4 v[232:235], a[48:55], a[80:87], 0// 000000008938: D3AD00E8 1A02A130
	v_mfma_f32_16x16x128_f8f6f4 v[236:239], a[48:55], a[88:95], 0// 000000008940: D3AD00EC 1A02B130
	s_waitcnt vmcnt(5)                                         // 000000008948: BF8C0F75
	v_mfma_f32_16x16x128_f8f6f4 v[240:243], a[56:63], a[64:71], 0// 00000000894C: D3AD00F0 1A028138
	v_mfma_f32_16x16x128_f8f6f4 v[244:247], a[56:63], a[72:79], 0// 000000008954: D3AD00F4 1A029138
	v_mfma_f32_16x16x128_f8f6f4 v[248:251], a[56:63], a[80:87], 0// 00000000895C: D3AD00F8 1A02A138
	v_mfma_f32_16x16x128_f8f6f4 v[252:255], a[56:63], a[88:95], 0// 000000008964: D3AD00FC 1A02B138
	v_mul_f32_dpp v58, v38, v21 row_newbcast:0 row_mask:0xf bank_mask:0xf// 00000000896C: 0A742AFA FF015026
	v_mov_b32_e32 v59, v58                                     // 000000008974: 7E76033A
	v_pk_mul_f32 v[192:193], v[58:59], v[192:193]              // 000000008978: D3B140C0 1803813A
	v_pk_mul_f32 v[194:195], v[58:59], v[194:195]              // 000000008980: D3B140C2 1803853A
	v_pk_mul_f32 v[208:209], v[58:59], v[208:209]              // 000000008988: D3B140D0 1803A13A
	v_pk_mul_f32 v[210:211], v[58:59], v[210:211]              // 000000008990: D3B140D2 1803A53A
	v_mul_f32_dpp v58, v38, v21 row_newbcast:1 row_mask:0xf bank_mask:0xf// 000000008998: 0A742AFA FF015126
	v_mov_b32_e32 v59, v58                                     // 0000000089A0: 7E76033A
	v_pk_mul_f32 v[224:225], v[58:59], v[224:225]              // 0000000089A4: D3B140E0 1803C13A
	v_pk_mul_f32 v[226:227], v[58:59], v[226:227]              // 0000000089AC: D3B140E2 1803C53A
	v_pk_mul_f32 v[240:241], v[58:59], v[240:241]              // 0000000089B4: D3B140F0 1803E13A
	v_pk_mul_f32 v[242:243], v[58:59], v[242:243]              // 0000000089BC: D3B140F2 1803E53A
	v_mul_f32_dpp v58, v38, v22 row_newbcast:0 row_mask:0xf bank_mask:0xf// 0000000089C4: 0A742CFA FF015026
	v_mov_b32_e32 v59, v58                                     // 0000000089CC: 7E76033A
	v_pk_mul_f32 v[196:197], v[58:59], v[196:197]              // 0000000089D0: D3B140C4 1803893A
	v_pk_mul_f32 v[198:199], v[58:59], v[198:199]              // 0000000089D8: D3B140C6 18038D3A
	v_pk_mul_f32 v[212:213], v[58:59], v[212:213]              // 0000000089E0: D3B140D4 1803A93A
	v_pk_mul_f32 v[214:215], v[58:59], v[214:215]              // 0000000089E8: D3B140D6 1803AD3A
	v_mul_f32_dpp v58, v38, v22 row_newbcast:1 row_mask:0xf bank_mask:0xf// 0000000089F0: 0A742CFA FF015126
	v_mov_b32_e32 v59, v58                                     // 0000000089F8: 7E76033A
	v_pk_mul_f32 v[228:229], v[58:59], v[228:229]              // 0000000089FC: D3B140E4 1803C93A
	v_pk_mul_f32 v[230:231], v[58:59], v[230:231]              // 000000008A04: D3B140E6 1803CD3A
	v_pk_mul_f32 v[244:245], v[58:59], v[244:245]              // 000000008A0C: D3B140F4 1803E93A
	v_pk_mul_f32 v[246:247], v[58:59], v[246:247]              // 000000008A14: D3B140F6 1803ED3A
	v_mul_f32_dpp v58, v38, v23 row_newbcast:0 row_mask:0xf bank_mask:0xf// 000000008A1C: 0A742EFA FF015026
	v_mov_b32_e32 v59, v58                                     // 000000008A24: 7E76033A
	v_pk_mul_f32 v[200:201], v[58:59], v[200:201]              // 000000008A28: D3B140C8 1803913A
	v_pk_mul_f32 v[202:203], v[58:59], v[202:203]              // 000000008A30: D3B140CA 1803953A
	v_pk_mul_f32 v[216:217], v[58:59], v[216:217]              // 000000008A38: D3B140D8 1803B13A
	v_pk_mul_f32 v[218:219], v[58:59], v[218:219]              // 000000008A40: D3B140DA 1803B53A
	v_mul_f32_dpp v58, v38, v23 row_newbcast:1 row_mask:0xf bank_mask:0xf// 000000008A48: 0A742EFA FF015126
	v_mov_b32_e32 v59, v58                                     // 000000008A50: 7E76033A
	v_pk_mul_f32 v[232:233], v[58:59], v[232:233]              // 000000008A54: D3B140E8 1803D13A
	v_pk_mul_f32 v[234:235], v[58:59], v[234:235]              // 000000008A5C: D3B140EA 1803D53A
	v_pk_mul_f32 v[248:249], v[58:59], v[248:249]              // 000000008A64: D3B140F8 1803F13A
	v_pk_mul_f32 v[250:251], v[58:59], v[250:251]              // 000000008A6C: D3B140FA 1803F53A
	v_mul_f32_dpp v58, v38, v24 row_newbcast:0 row_mask:0xf bank_mask:0xf// 000000008A74: 0A7430FA FF015026
	v_mov_b32_e32 v59, v58                                     // 000000008A7C: 7E76033A
	v_pk_mul_f32 v[204:205], v[58:59], v[204:205]              // 000000008A80: D3B140CC 1803993A
	v_pk_mul_f32 v[206:207], v[58:59], v[206:207]              // 000000008A88: D3B140CE 18039D3A
	v_pk_mul_f32 v[220:221], v[58:59], v[220:221]              // 000000008A90: D3B140DC 1803B93A
	v_pk_mul_f32 v[222:223], v[58:59], v[222:223]              // 000000008A98: D3B140DE 1803BD3A
	v_mul_f32_dpp v58, v38, v24 row_newbcast:1 row_mask:0xf bank_mask:0xf// 000000008AA0: 0A7430FA FF015126
	v_mov_b32_e32 v59, v58                                     // 000000008AA8: 7E76033A
	v_pk_mul_f32 v[236:237], v[58:59], v[236:237]              // 000000008AAC: D3B140EC 1803D93A
	v_pk_mul_f32 v[238:239], v[58:59], v[238:239]              // 000000008AB4: D3B140EE 1803DD3A
	v_pk_mul_f32 v[252:253], v[58:59], v[252:253]              // 000000008ABC: D3B140FC 1803F93A
	v_pk_mul_f32 v[254:255], v[58:59], v[254:255]              // 000000008AC4: D3B140FE 1803FD3A
	s_add_u32 s56, 0x200, s76                                  // 000000008ACC: 80384CFF 00000200
	s_cmp_lt_u32 s56, s77                                      // 000000008AD4: BF0A4D38
	s_cselect_b32 s52, s52, 0                                  // 000000008AD8: 85348034
	s_cselect_b32 s74, s74, 0                                  // 000000008ADC: 854A804A
	s_cselect_b32 s75, s75, 0                                  // 000000008AE0: 854B804B
	s_add_u32 s12, s52, s12                                    // 000000008AE4: 800C0C34
	s_addc_u32 s13, 0, s13                                     // 000000008AE8: 820D0D80
	s_add_u32 s16, s75, s16                                    // 000000008AEC: 8010104B
	s_addc_u32 s17, 0, s17                                     // 000000008AF0: 82111180
	v_mov_b32_e32 v58, v39                                     // 000000008AF4: 7E740327
	v_mov_b32_e32 v59, v39                                     // 000000008AF8: 7E760327
	v_pk_mul_f32 v[192:193], v[58:59], v[192:193]              // 000000008AFC: D3B140C0 1803813A
	v_pk_mul_f32 v[194:195], v[58:59], v[194:195]              // 000000008B04: D3B140C2 1803853A
	v_pk_mul_f32 v[208:209], v[58:59], v[208:209]              // 000000008B0C: D3B140D0 1803A13A
	v_pk_mul_f32 v[210:211], v[58:59], v[210:211]              // 000000008B14: D3B140D2 1803A53A
	v_pk_mul_f32 v[224:225], v[58:59], v[224:225]              // 000000008B1C: D3B140E0 1803C13A
	v_pk_mul_f32 v[226:227], v[58:59], v[226:227]              // 000000008B24: D3B140E2 1803C53A
	v_pk_mul_f32 v[240:241], v[58:59], v[240:241]              // 000000008B2C: D3B140F0 1803E13A
	v_pk_mul_f32 v[242:243], v[58:59], v[242:243]              // 000000008B34: D3B140F2 1803E53A
	v_mov_b32_e32 v58, v40                                     // 000000008B3C: 7E740328
	v_mov_b32_e32 v59, v40                                     // 000000008B40: 7E760328
	v_pk_mul_f32 v[196:197], v[58:59], v[196:197]              // 000000008B44: D3B140C4 1803893A
	v_pk_mul_f32 v[198:199], v[58:59], v[198:199]              // 000000008B4C: D3B140C6 18038D3A
	v_pk_mul_f32 v[212:213], v[58:59], v[212:213]              // 000000008B54: D3B140D4 1803A93A
	v_pk_mul_f32 v[214:215], v[58:59], v[214:215]              // 000000008B5C: D3B140D6 1803AD3A
	v_pk_mul_f32 v[228:229], v[58:59], v[228:229]              // 000000008B64: D3B140E4 1803C93A
	v_pk_mul_f32 v[230:231], v[58:59], v[230:231]              // 000000008B6C: D3B140E6 1803CD3A
	v_pk_mul_f32 v[244:245], v[58:59], v[244:245]              // 000000008B74: D3B140F4 1803E93A
	v_pk_mul_f32 v[246:247], v[58:59], v[246:247]              // 000000008B7C: D3B140F6 1803ED3A
	v_mov_b32_e32 v58, v41                                     // 000000008B84: 7E740329
	v_mov_b32_e32 v59, v41                                     // 000000008B88: 7E760329
	v_pk_mul_f32 v[200:201], v[58:59], v[200:201]              // 000000008B8C: D3B140C8 1803913A
	v_pk_mul_f32 v[202:203], v[58:59], v[202:203]              // 000000008B94: D3B140CA 1803953A
	v_pk_mul_f32 v[216:217], v[58:59], v[216:217]              // 000000008B9C: D3B140D8 1803B13A
	v_pk_mul_f32 v[218:219], v[58:59], v[218:219]              // 000000008BA4: D3B140DA 1803B53A
	v_pk_mul_f32 v[232:233], v[58:59], v[232:233]              // 000000008BAC: D3B140E8 1803D13A
	v_pk_mul_f32 v[234:235], v[58:59], v[234:235]              // 000000008BB4: D3B140EA 1803D53A
	v_pk_mul_f32 v[248:249], v[58:59], v[248:249]              // 000000008BBC: D3B140F8 1803F13A
	v_pk_mul_f32 v[250:251], v[58:59], v[250:251]              // 000000008BC4: D3B140FA 1803F53A
	v_mov_b32_e32 v58, v42                                     // 000000008BCC: 7E74032A
	v_mov_b32_e32 v59, v42                                     // 000000008BD0: 7E76032A
	v_pk_mul_f32 v[204:205], v[58:59], v[204:205]              // 000000008BD4: D3B140CC 1803993A
	v_pk_mul_f32 v[206:207], v[58:59], v[206:207]              // 000000008BDC: D3B140CE 18039D3A
	v_pk_mul_f32 v[220:221], v[58:59], v[220:221]              // 000000008BE4: D3B140DC 1803B93A
	v_pk_mul_f32 v[222:223], v[58:59], v[222:223]              // 000000008BEC: D3B140DE 1803BD3A
	v_pk_mul_f32 v[236:237], v[58:59], v[236:237]              // 000000008BF4: D3B140EC 1803D93A
	v_pk_mul_f32 v[238:239], v[58:59], v[238:239]              // 000000008BFC: D3B140EE 1803DD3A
	v_pk_mul_f32 v[252:253], v[58:59], v[252:253]              // 000000008C04: D3B140FC 1803F93A
	v_pk_mul_f32 v[254:255], v[58:59], v[254:255]              // 000000008C0C: D3B140FE 1803FD3A
	v_cvt_pk_bf16_f32 v192, v192, v193                         // 000000008C14: D26800C0 000383C0
	v_cvt_pk_bf16_f32 v193, v194, v195                         // 000000008C1C: D26800C1 000387C2
	v_cvt_pk_bf16_f32 v194, v196, v197                         // 000000008C24: D26800C2 00038BC4
	v_cvt_pk_bf16_f32 v195, v198, v199                         // 000000008C2C: D26800C3 00038FC6
	v_cvt_pk_bf16_f32 v196, v200, v201                         // 000000008C34: D26800C4 000393C8
	v_cvt_pk_bf16_f32 v197, v202, v203                         // 000000008C3C: D26800C5 000397CA
	v_cvt_pk_bf16_f32 v198, v204, v205                         // 000000008C44: D26800C6 00039BCC
	v_cvt_pk_bf16_f32 v199, v206, v207                         // 000000008C4C: D26800C7 00039FCE
	v_cvt_pk_bf16_f32 v200, v208, v209                         // 000000008C54: D26800C8 0003A3D0
	v_cvt_pk_bf16_f32 v201, v210, v211                         // 000000008C5C: D26800C9 0003A7D2
	v_cvt_pk_bf16_f32 v202, v212, v213                         // 000000008C64: D26800CA 0003ABD4
	v_cvt_pk_bf16_f32 v203, v214, v215                         // 000000008C6C: D26800CB 0003AFD6
	v_cvt_pk_bf16_f32 v204, v216, v217                         // 000000008C74: D26800CC 0003B3D8
	v_cvt_pk_bf16_f32 v205, v218, v219                         // 000000008C7C: D26800CD 0003B7DA
	v_cvt_pk_bf16_f32 v206, v220, v221                         // 000000008C84: D26800CE 0003BBDC
	v_cvt_pk_bf16_f32 v207, v222, v223                         // 000000008C8C: D26800CF 0003BFDE
	v_cvt_pk_bf16_f32 v208, v224, v225                         // 000000008C94: D26800D0 0003C3E0
	v_cvt_pk_bf16_f32 v209, v226, v227                         // 000000008C9C: D26800D1 0003C7E2
	v_cvt_pk_bf16_f32 v210, v228, v229                         // 000000008CA4: D26800D2 0003CBE4
	v_cvt_pk_bf16_f32 v211, v230, v231                         // 000000008CAC: D26800D3 0003CFE6
	v_cvt_pk_bf16_f32 v212, v232, v233                         // 000000008CB4: D26800D4 0003D3E8
	v_cvt_pk_bf16_f32 v213, v234, v235                         // 000000008CBC: D26800D5 0003D7EA
	v_cvt_pk_bf16_f32 v214, v236, v237                         // 000000008CC4: D26800D6 0003DBEC
	v_cvt_pk_bf16_f32 v215, v238, v239                         // 000000008CCC: D26800D7 0003DFEE
	v_cvt_pk_bf16_f32 v216, v240, v241                         // 000000008CD4: D26800D8 0003E3F0
	v_cvt_pk_bf16_f32 v217, v242, v243                         // 000000008CDC: D26800D9 0003E7F2
	v_cvt_pk_bf16_f32 v218, v244, v245                         // 000000008CE4: D26800DA 0003EBF4
	v_cvt_pk_bf16_f32 v219, v246, v247                         // 000000008CEC: D26800DB 0003EFF6
	v_cvt_pk_bf16_f32 v220, v248, v249                         // 000000008CF4: D26800DC 0003F3F8
	v_cvt_pk_bf16_f32 v221, v250, v251                         // 000000008CFC: D26800DD 0003F7FA
	v_cvt_pk_bf16_f32 v222, v252, v253                         // 000000008D04: D26800DE 0003FBFC
	v_cvt_pk_bf16_f32 v223, v254, v255                         // 000000008D0C: D26800DF 0003FFFE
	ds_write_b64 v4, v[192:193]                                // 000000008D14: D89A0000 0000C004
	ds_write_b64 v4, v[194:195] offset:8704                    // 000000008D1C: D89A2200 0000C204
	ds_write_b64 v5, v[196:197]                                // 000000008D24: D89A0000 0000C405
	ds_write_b64 v5, v[198:199] offset:8704                    // 000000008D2C: D89A2200 0000C605
	ds_write_b64 v4, v[200:201] offset:2176                    // 000000008D34: D89A0880 0000C804
	ds_write_b64 v4, v[202:203] offset:10880                   // 000000008D3C: D89A2A80 0000CA04
	ds_write_b64 v5, v[204:205] offset:2176                    // 000000008D44: D89A0880 0000CC05
	ds_write_b64 v5, v[206:207] offset:10880                   // 000000008D4C: D89A2A80 0000CE05
	ds_write_b64 v4, v[208:209] offset:4352                    // 000000008D54: D89A1100 0000D004
	ds_write_b64 v4, v[210:211] offset:13056                   // 000000008D5C: D89A3300 0000D204
	ds_write_b64 v5, v[212:213] offset:4352                    // 000000008D64: D89A1100 0000D405
	ds_write_b64 v5, v[214:215] offset:13056                   // 000000008D6C: D89A3300 0000D605
	ds_write_b64 v4, v[216:217] offset:6528                    // 000000008D74: D89A1980 0000D804
	ds_write_b64 v4, v[218:219] offset:15232                   // 000000008D7C: D89A3B80 0000DA04
	ds_write_b64 v5, v[220:221] offset:6528                    // 000000008D84: D89A1980 0000DC05
	ds_write_b64 v5, v[222:223] offset:15232                   // 000000008D8C: D89A3B80 0000DE05
	s_waitcnt lgkmcnt(0)                                       // 000000008D94: BF8CC07F
	s_barrier                                                  // 000000008D98: BF8A0000
	ds_read_b32 v64, v6                                        // 000000008D9C: D86C0000 40000006
	ds_read_b32 v65, v6 offset:4352                            // 000000008DA4: D86C1100 41000006
	ds_read_b32 v66, v6 offset:8                               // 000000008DAC: D86C0008 42000006
	ds_read_b32 v67, v6 offset:4360                            // 000000008DB4: D86C1108 43000006
	ds_read_b32 v68, v6 offset:32                              // 000000008DBC: D86C0020 44000006
	ds_read_b32 v69, v6 offset:4384                            // 000000008DC4: D86C1120 45000006
	ds_read_b32 v70, v6 offset:40                              // 000000008DCC: D86C0028 46000006
	ds_read_b32 v71, v6 offset:4392                            // 000000008DD4: D86C1128 47000006
	ds_read_b32 v72, v6 offset:8704                            // 000000008DDC: D86C2200 48000006
	ds_read_b32 v73, v6 offset:13056                           // 000000008DE4: D86C3300 49000006
	ds_read_b32 v74, v6 offset:8712                            // 000000008DEC: D86C2208 4A000006
	ds_read_b32 v75, v6 offset:13064                           // 000000008DF4: D86C3308 4B000006
	ds_read_b32 v76, v6 offset:8736                            // 000000008DFC: D86C2220 4C000006
	ds_read_b32 v77, v6 offset:13088                           // 000000008E04: D86C3320 4D000006
	ds_read_b32 v78, v6 offset:8744                            // 000000008E0C: D86C2228 4E000006
	ds_read_b32 v79, v6 offset:13096                           // 000000008E14: D86C3328 4F000006
	ds_read_b32 v80, v7                                        // 000000008E1C: D86C0000 50000007
	ds_read_b32 v81, v7 offset:4352                            // 000000008E24: D86C1100 51000007
	ds_read_b32 v82, v7 offset:8                               // 000000008E2C: D86C0008 52000007
	ds_read_b32 v83, v7 offset:4360                            // 000000008E34: D86C1108 53000007
	ds_read_b32 v84, v7 offset:32                              // 000000008E3C: D86C0020 54000007
	ds_read_b32 v85, v7 offset:4384                            // 000000008E44: D86C1120 55000007
	ds_read_b32 v86, v7 offset:40                              // 000000008E4C: D86C0028 56000007
	ds_read_b32 v87, v7 offset:4392                            // 000000008E54: D86C1128 57000007
	ds_read_b32 v88, v7 offset:8704                            // 000000008E5C: D86C2200 58000007
	ds_read_b32 v89, v7 offset:13056                           // 000000008E64: D86C3300 59000007
	ds_read_b32 v90, v7 offset:8712                            // 000000008E6C: D86C2208 5A000007
	ds_read_b32 v91, v7 offset:13064                           // 000000008E74: D86C3308 5B000007
	ds_read_b32 v92, v7 offset:8736                            // 000000008E7C: D86C2220 5C000007
	ds_read_b32 v93, v7 offset:13088                           // 000000008E84: D86C3320 5D000007
	ds_read_b32 v94, v7 offset:8744                            // 000000008E8C: D86C2228 5E000007
	ds_read_b32 v95, v7 offset:13096                           // 000000008E94: D86C3328 5F000007
	s_waitcnt lgkmcnt(0)                                       // 000000008E9C: BF8CC07F
	s_setvskip s20, 0                                          // 000000008EA0: BF108014
	global_atomic_pk_add_bf16 v96, v64, s[8:9]                 // 000000008EA4: DD488000 00084060
	s_setvskip 0, 0                                            // 000000008EAC: BF108080
	s_setvskip s20, 0                                          // 000000008EB0: BF108014
	global_atomic_pk_add_bf16 v96, v65, s[8:9] offset:256      // 000000008EB4: DD488100 00084160
	s_setvskip 0, 0                                            // 000000008EBC: BF108080
	s_setvskip s20, 1                                          // 000000008EC0: BF108114
	global_atomic_pk_add_bf16 v98, v66, s[8:9]                 // 000000008EC4: DD488000 00084262
	s_setvskip 0, 0                                            // 000000008ECC: BF108080
	s_setvskip s20, 1                                          // 000000008ED0: BF108114
	global_atomic_pk_add_bf16 v98, v67, s[8:9] offset:256      // 000000008ED4: DD488100 00084362
	s_setvskip 0, 0                                            // 000000008EDC: BF108080
	s_setvskip s20, 2                                          // 000000008EE0: BF108214
	global_atomic_pk_add_bf16 v100, v68, s[8:9]                // 000000008EE4: DD488000 00084464
	s_setvskip 0, 0                                            // 000000008EEC: BF108080
	s_setvskip s20, 2                                          // 000000008EF0: BF108214
	global_atomic_pk_add_bf16 v100, v69, s[8:9] offset:256     // 000000008EF4: DD488100 00084564
	s_setvskip 0, 0                                            // 000000008EFC: BF108080
	s_setvskip s20, 3                                          // 000000008F00: BF108314
	global_atomic_pk_add_bf16 v102, v70, s[8:9]                // 000000008F04: DD488000 00084666
	s_setvskip 0, 0                                            // 000000008F0C: BF108080
	s_setvskip s20, 3                                          // 000000008F10: BF108314
	global_atomic_pk_add_bf16 v102, v71, s[8:9] offset:256     // 000000008F14: DD488100 00084766
	s_setvskip 0, 0                                            // 000000008F1C: BF108080
	s_setvskip s20, 4                                          // 000000008F20: BF108414
	global_atomic_pk_add_bf16 v104, v72, s[8:9]                // 000000008F24: DD488000 00084868
	s_setvskip 0, 0                                            // 000000008F2C: BF108080
	s_setvskip s20, 4                                          // 000000008F30: BF108414
	global_atomic_pk_add_bf16 v104, v73, s[8:9] offset:256     // 000000008F34: DD488100 00084968
	s_setvskip 0, 0                                            // 000000008F3C: BF108080
	s_setvskip s20, 5                                          // 000000008F40: BF108514
	global_atomic_pk_add_bf16 v106, v74, s[8:9]                // 000000008F44: DD488000 00084A6A
	s_setvskip 0, 0                                            // 000000008F4C: BF108080
	s_setvskip s20, 5                                          // 000000008F50: BF108514
	global_atomic_pk_add_bf16 v106, v75, s[8:9] offset:256     // 000000008F54: DD488100 00084B6A
	s_setvskip 0, 0                                            // 000000008F5C: BF108080
	s_setvskip s20, 6                                          // 000000008F60: BF108614
	global_atomic_pk_add_bf16 v108, v76, s[8:9]                // 000000008F64: DD488000 00084C6C
	s_setvskip 0, 0                                            // 000000008F6C: BF108080
	s_setvskip s20, 6                                          // 000000008F70: BF108614
	global_atomic_pk_add_bf16 v108, v77, s[8:9] offset:256     // 000000008F74: DD488100 00084D6C
	s_setvskip 0, 0                                            // 000000008F7C: BF108080
	s_setvskip s20, 7                                          // 000000008F80: BF108714
	global_atomic_pk_add_bf16 v110, v78, s[8:9]                // 000000008F84: DD488000 00084E6E
	s_setvskip 0, 0                                            // 000000008F8C: BF108080
	s_setvskip s20, 7                                          // 000000008F90: BF108714
	global_atomic_pk_add_bf16 v110, v79, s[8:9] offset:256     // 000000008F94: DD488100 00084F6E
	s_setvskip 0, 0                                            // 000000008F9C: BF108080
	s_setvskip s20, 8                                          // 000000008FA0: BF108814
	global_atomic_pk_add_bf16 v112, v80, s[8:9]                // 000000008FA4: DD488000 00085070
	s_setvskip 0, 0                                            // 000000008FAC: BF108080
	s_setvskip s20, 8                                          // 000000008FB0: BF108814
	global_atomic_pk_add_bf16 v112, v81, s[8:9] offset:256     // 000000008FB4: DD488100 00085170
	s_setvskip 0, 0                                            // 000000008FBC: BF108080
	s_setvskip s20, 9                                          // 000000008FC0: BF108914
	global_atomic_pk_add_bf16 v114, v82, s[8:9]                // 000000008FC4: DD488000 00085272
	s_setvskip 0, 0                                            // 000000008FCC: BF108080
	s_setvskip s20, 9                                          // 000000008FD0: BF108914
	global_atomic_pk_add_bf16 v114, v83, s[8:9] offset:256     // 000000008FD4: DD488100 00085372
	s_setvskip 0, 0                                            // 000000008FDC: BF108080
	s_setvskip s20, 10                                         // 000000008FE0: BF108A14
	global_atomic_pk_add_bf16 v116, v84, s[8:9]                // 000000008FE4: DD488000 00085474
	s_setvskip 0, 0                                            // 000000008FEC: BF108080
	s_setvskip s20, 10                                         // 000000008FF0: BF108A14
	global_atomic_pk_add_bf16 v116, v85, s[8:9] offset:256     // 000000008FF4: DD488100 00085574
	s_setvskip 0, 0                                            // 000000008FFC: BF108080
	s_setvskip s20, 11                                         // 000000009000: BF108B14
	global_atomic_pk_add_bf16 v118, v86, s[8:9]                // 000000009004: DD488000 00085676
	s_setvskip 0, 0                                            // 00000000900C: BF108080
	s_setvskip s20, 11                                         // 000000009010: BF108B14
	global_atomic_pk_add_bf16 v118, v87, s[8:9] offset:256     // 000000009014: DD488100 00085776
	s_setvskip 0, 0                                            // 00000000901C: BF108080
	s_setvskip s20, 12                                         // 000000009020: BF108C14
	global_atomic_pk_add_bf16 v120, v88, s[8:9]                // 000000009024: DD488000 00085878
	s_setvskip 0, 0                                            // 00000000902C: BF108080
	s_setvskip s20, 12                                         // 000000009030: BF108C14
	global_atomic_pk_add_bf16 v120, v89, s[8:9] offset:256     // 000000009034: DD488100 00085978
	s_setvskip 0, 0                                            // 00000000903C: BF108080
	s_setvskip s20, 13                                         // 000000009040: BF108D14
	global_atomic_pk_add_bf16 v122, v90, s[8:9]                // 000000009044: DD488000 00085A7A
	s_setvskip 0, 0                                            // 00000000904C: BF108080
	s_setvskip s20, 13                                         // 000000009050: BF108D14
	global_atomic_pk_add_bf16 v122, v91, s[8:9] offset:256     // 000000009054: DD488100 00085B7A
	s_setvskip 0, 0                                            // 00000000905C: BF108080
	s_setvskip s20, 14                                         // 000000009060: BF108E14
	global_atomic_pk_add_bf16 v124, v92, s[8:9]                // 000000009064: DD488000 00085C7C
	s_setvskip 0, 0                                            // 00000000906C: BF108080
	s_setvskip s20, 14                                         // 000000009070: BF108E14
	global_atomic_pk_add_bf16 v124, v93, s[8:9] offset:256     // 000000009074: DD488100 00085D7C
	s_setvskip 0, 0                                            // 00000000907C: BF108080
	s_setvskip s20, 15                                         // 000000009080: BF108F14
	global_atomic_pk_add_bf16 v126, v94, s[8:9]                // 000000009084: DD488000 00085E7E
	s_setvskip 0, 0                                            // 00000000908C: BF108080
	s_setvskip s20, 15                                         // 000000009090: BF108F14
	global_atomic_pk_add_bf16 v126, v95, s[8:9] offset:256     // 000000009094: DD488100 00085F7E
	s_setvskip 0, 0                                            // 00000000909C: BF108080
	s_add_u32 s8, s55, s8                                      // 0000000090A0: 80080837
	s_addc_u32 s9, 0, s9                                       // 0000000090A4: 82090980
	s_addk_i32 s76, 0x100                                      // 0000000090A8: B74C0100
	s_cmp_lt_i32 s76, s77                                      // 0000000090AC: BF044D4C
	s_cbranch_scc0 label_0E53                                  // 0000000090B0: BF84F5A6
	s_branch label_149B                                        // 0000000090B4: BF82FBED

00000000000090b8 <label_18AE>:
	s_waitcnt vmcnt(0) expcnt(0) lgkmcnt(0)                    // 0000000090B8: BF8C0000
	s_add_u32 s101, s101, 1                                    // 0000000090BC: 80658165
	s_cmp_eq_u32 s59, 0                                        // 0000000090C0: BF06803B
	s_cbranch_scc0 label_0039                                  // 0000000090C4: BF84E787

00000000000090c8 <label_18B2>:
	s_waitcnt vmcnt(0) expcnt(0) lgkmcnt(0)                    // 0000000090C8: BF8C0000
	s_endpgm                                                   // 0000000090CC: BF810000
